;; amdgpu-corpus repo=ROCm/aiter kind=harvested arch=n/a opt=n/a

/root/src/amdgpu-assembly/repos/ROCm__aiter/hsa/gfx950/f4gemm/f4gemm_bf16_per1x32Fp4_BpreShuffle_256x128.co:	file format elf64-amdgpu

Disassembly of section .text:

0000000000002c00 <_ZN5aiter42f4gemm_bf16_per1x32Fp4_BpreShuffle_256x128E>:
	s_and_b32 s1, s1, 0xffff                                   // 000000002C00: 8601FF01 0000FFFF
	s_load_dwordx2 s[4:5], s[0:1], 0x0                         // 000000002C08: C0060100 00000000
	s_load_dwordx2 s[8:9], s[0:1], 0x10                        // 000000002C10: C0060200 00000010
	s_load_dwordx2 s[12:13], s[0:1], 0x20                      // 000000002C18: C0060300 00000020
	s_load_dwordx2 s[16:17], s[0:1], 0x30                      // 000000002C20: C0060400 00000030
	s_load_dword s41, s[0:1], 0x40                             // 000000002C28: C0020A40 00000040
	s_load_dword s42, s[0:1], 0x50                             // 000000002C30: C0020A80 00000050
	s_load_dword s36, s[0:1], 0x80                             // 000000002C38: C0020900 00000080
	s_load_dword s37, s[0:1], 0xa0                             // 000000002C40: C0020940 000000A0
	s_load_dword s38, s[0:1], 0xc0                             // 000000002C48: C0020980 000000C0
	s_load_dword s43, s[0:1], 0xe0                             // 000000002C50: C0020AC0 000000E0
	s_load_dword s44, s[0:1], 0xf0                             // 000000002C58: C0020B00 000000F0
	s_load_dword s45, s[0:1], 0x100                            // 000000002C60: C0020B40 00000100
	s_load_dwordx2 s[20:21], s[0:1], 0x110                     // 000000002C68: C0060500 00000110
	s_load_dwordx2 s[24:25], s[0:1], 0x120                     // 000000002C70: C0060600 00000120
	s_load_dword s39, s[0:1], 0x130                            // 000000002C78: C00209C0 00000130
	s_load_dword s40, s[0:1], 0x150                            // 000000002C80: C0020A00 00000150
	v_lshrrev_b32_e32 v1, 10, v0                               // 000000002C88: 2002008A
	v_lshrrev_b32_e32 v2, 10, v1                               // 000000002C8C: 2004028A
	v_and_b32_e32 v2, 0x3ff, v2                                // 000000002C90: 260404FF 000003FF
	v_and_b32_e32 v1, 0x3ff, v1                                // 000000002C98: 260202FF 000003FF
	v_and_b32_e32 v0, 0x3ff, v0                                // 000000002CA0: 260000FF 000003FF
	v_lshrrev_b32_e32 v3, 6, v0                                // 000000002CA8: 20060086
	v_and_b32_e32 v0, 63, v0                                   // 000000002CAC: 260000BF
	s_mov_b32 s47, s2                                          // 000000002CB0: BEAF0002
	s_mov_b32 s48, s3                                          // 000000002CB4: BEB00003
	v_readfirstlane_b32 s46, v3                                // 000000002CB8: 7E5C0503
	s_waitcnt lgkmcnt(0)                                       // 000000002CBC: BF8CC07F
	s_add_u32 s51, s44, 0x7f                                   // 000000002CC0: 8033FF2C 0000007F
	s_lshr_b32 s50, s51, 7                                     // 000000002CC8: 8F328733
	s_mul_i32 s49, s50, s48                                    // 000000002CCC: 92313032
	s_add_i32 s49, s49, s47                                    // 000000002CD0: 81312F31
	s_add_u32 s51, s43, 0xff                                   // 000000002CD4: 8033FF2B 000000FF
	s_lshr_b32 s62, s51, 8                                     // 000000002CDC: 8F3E8833
	s_lshl_b32 s62, s62, 5                                     // 000000002CE0: 8E3E853E
	s_mov_b32 s47, 0                                           // 000000002CE4: BEAF0080

0000000000002ce8 <label_003A>:
	s_cmp_lt_i32 s49, s62                                      // 000000002CE8: BF043E31
	s_cbranch_scc1 label_003F                                  // 000000002CEC: BF850003
	s_sub_i32 s49, s49, s62                                    // 000000002CF0: 81B13E31
	s_add_i32 s47, s47, 32                                     // 000000002CF4: 812FA02F
	s_branch label_003A                                        // 000000002CF8: BF82FFFB

0000000000002cfc <label_003F>:
	s_sub_i32 s50, s50, s47                                    // 000000002CFC: 81B22F32
	s_cmp_lt_i32 s50, 32                                       // 000000002D00: BF04A032
	s_cbranch_scc1 label_0045                                  // 000000002D04: BF850003
	s_lshr_b32 s48, s49, 5                                     // 000000002D08: 8F308531
	s_and_b32 s62, s49, 31                                     // 000000002D0C: 863E9F31
	s_branch label_0065                                        // 000000002D10: BF820020

0000000000002d14 <label_0045>:
	v_cvt_f32_u32_e32 v4, s50                                  // 000000002D14: 7E080C32
	s_sub_i32 s48, 0, s50                                      // 000000002D18: 81B03280
	v_rcp_iflag_f32_e32 v4, v4                                 // 000000002D1C: 7E084704
	s_nop 0                                                    // 000000002D20: BF800000
	v_mul_f32_e32 v4, 0x4f7ffffe, v4                           // 000000002D24: 0A0808FF 4F7FFFFE
	v_cvt_u32_f32_e32 v4, v4                                   // 000000002D2C: 7E080F04
	v_mul_lo_u32 v5, s48, v4                                   // 000000002D30: D2850005 00020830
	v_mul_hi_u32 v5, v4, v5                                    // 000000002D38: D2860005 00020B04
	v_add_u32_e32 v4, v4, v5                                   // 000000002D40: 68080B04
	v_mul_hi_u32 v4, s49, v4                                   // 000000002D44: D2860004 00020831
	v_mul_lo_u32 v5, v4, s50                                   // 000000002D4C: D2850005 00006504
	v_sub_u32_e32 v7, s49, v5                                  // 000000002D54: 6A0E0A31
	v_add_u32_e32 v6, 1, v4                                    // 000000002D58: 680C0881
	v_cmp_le_u32_e32 vcc, s50, v7                              // 000000002D5C: 7D960E32
	v_subrev_u32_e32 v5, s50, v7                               // 000000002D60: 6C0A0E32
	s_nop 0                                                    // 000000002D64: BF800000
	v_cndmask_b32_e32 v4, v4, v6, vcc                          // 000000002D68: 00080D04
	v_cndmask_b32_e32 v7, v7, v5, vcc                          // 000000002D6C: 000E0B07
	v_add_u32_e32 v5, 1, v4                                    // 000000002D70: 680A0881
	v_cmp_le_u32_e32 vcc, s50, v7                              // 000000002D74: 7D960E32
	s_nop 1                                                    // 000000002D78: BF800001
	v_cndmask_b32_e32 v7, v4, v5, vcc                          // 000000002D7C: 000E0B04
	s_nop 3                                                    // 000000002D80: BF800003
	v_readfirstlane_b32 s48, v7                                // 000000002D84: 7E600507
	s_nop 3                                                    // 000000002D88: BF800003
	s_mul_i32 s62, s50, s48                                    // 000000002D8C: 923E3032
	s_sub_i32 s62, s49, s62                                    // 000000002D90: 81BE3E31

0000000000002d94 <label_0065>:
	s_add_i32 s47, s62, s47                                    // 000000002D94: 812F2F3E
	s_lshr_b32 s37, s37, 1                                     // 000000002D98: 8F258125
	s_mul_i32 s62, s48, 0x100                                  // 000000002D9C: 923EFF30 00000100
	s_mul_hi_u32 s63, s37, s62                                 // 000000002DA4: 963F3E25
	s_add_u32 s13, s13, s63                                    // 000000002DA8: 800D3F0D
	s_mul_i32 s63, s37, s62                                    // 000000002DAC: 923F3E25
	s_add_u32 s12, s12, s63                                    // 000000002DB0: 800C3F0C
	s_addc_u32 s13, s13, 0                                     // 000000002DB4: 820D800D
	s_sub_i32 s63, s43, s62                                    // 000000002DB8: 81BF3E2B
	s_cmp_lt_u32 s63, 0x100                                    // 000000002DBC: BF0AFF3F 00000100
	s_cselect_b32 s62, s63, 0x100                              // 000000002DC4: 853EFF3F 00000100
	s_mul_i32 s14, s37, s62                                    // 000000002DCC: 920E3E25
	s_mov_b32 s15, 0x20000                                     // 000000002DD0: BE8F00FF 00020000
	v_lshrrev_b32_e32 v4, 3, v0                                // 000000002DD8: 20080083
	v_lshrrev_b32_e32 v5, 2, v4                                // 000000002DDC: 200A0882
	v_lshlrev_b32_e32 v5, 4, v5                                // 000000002DE0: 240A0A84
	v_and_b32_e32 v4, 3, v4                                    // 000000002DE4: 26080883
	v_lshrrev_b32_e32 v6, 1, v4                                // 000000002DE8: 200C0881
	v_lshlrev_b32_e32 v6, 2, v6                                // 000000002DEC: 240C0C82
	v_add_u32_e32 v5, v5, v6                                   // 000000002DF0: 680A0D05
	v_and_b32_e32 v4, 1, v4                                    // 000000002DF4: 26080881
	v_add_u32_e32 v5, v5, v4                                   // 000000002DF8: 680A0905
	v_mul_lo_u32 v212, s37, v5                                 // 000000002DFC: D28500D4 00020A25
	v_and_b32_e32 v4, 7, v0                                    // 000000002E04: 26080087
	v_lshlrev_b32_e32 v4, 4, v4                                // 000000002E08: 24080884
	v_add_u32_e32 v212, v4, v212                               // 000000002E0C: 69A9A904
	s_lshr_b32 s62, s46, 1                                     // 000000002E10: 8F3E812E
	s_mul_i32 s62, s62, 8                                      // 000000002E14: 923E883E
	s_and_b32 s63, s46, 1                                      // 000000002E18: 863F812E
	s_mul_i32 s63, s63, 2                                      // 000000002E1C: 923F823F
	s_add_u32 s62, s62, s63                                    // 000000002E20: 803E3F3E
	s_mul_i32 s62, s37, s62                                    // 000000002E24: 923E3E25
	v_add_u32_e32 v212, s62, v212                              // 000000002E28: 69A9A83E
	s_mul_i32 s62, s37, 32                                     // 000000002E2C: 923EA025
	v_add_u32_e32 v213, s62, v212                              // 000000002E30: 69ABA83E
	v_add_u32_e32 v214, s62, v213                              // 000000002E34: 69ADAA3E
	v_add_u32_e32 v215, s62, v214                              // 000000002E38: 69AFAC3E
	v_add_u32_e32 v216, s62, v215                              // 000000002E3C: 69B1AE3E
	v_add_u32_e32 v217, s62, v216                              // 000000002E40: 69B3B03E
	v_add_u32_e32 v218, s62, v217                              // 000000002E44: 69B5B23E
	v_add_u32_e32 v219, s62, v218                              // 000000002E48: 69B7B43E
	s_mul_i32 s64, 0x420, s46                                  // 000000002E4C: 92402EFF 00000420
	s_add_u32 s64, 0x2000, s64                                 // 000000002E54: 804040FF 00002000
	v_and_b32_e32 v4, 15, v0                                   // 000000002E5C: 2608008F
	v_lshrrev_b32_e32 v5, 3, v4                                // 000000002E60: 200A0883
	v_mul_i32_i24_e32 v5, 2, v5                                // 000000002E64: 0C0A0A82
	v_and_b32_e32 v4, 3, v0                                    // 000000002E68: 26080083
	v_lshrrev_b32_e32 v6, 1, v4                                // 000000002E6C: 200C0881
	v_add_u32_e32 v4, v5, v6                                   // 000000002E70: 68080D05
	v_mul_i32_i24_e32 v220, 0x420, v4                          // 000000002E74: 0DB808FF 00000420
	v_and_b32_e32 v4, 7, v0                                    // 000000002E7C: 26080087
	v_lshrrev_b32_e32 v5, 2, v4                                // 000000002E80: 200A0882
	v_mul_i32_i24_e32 v5, 0x100, v5                            // 000000002E84: 0C0A0AFF 00000100
	v_add_u32_e32 v220, v5, v220                               // 000000002E8C: 69B9B905
	v_and_b32_e32 v4, 1, v0                                    // 000000002E90: 26080081
	v_mul_i32_i24_e32 v6, 0x80, v4                             // 000000002E94: 0C0C08FF 00000080
	v_add_u32_e32 v220, v6, v220                               // 000000002E9C: 69B9B906
	v_lshrrev_b32_e32 v4, 4, v0                                // 000000002EA0: 20080084
	v_mul_i32_i24_e32 v4, 16, v4                               // 000000002EA4: 0C080890
	v_add_u32_e32 v220, v4, v220                               // 000000002EA8: 69B9B904
	v_add_u32_e32 v220, 0x2000, v220                           // 000000002EAC: 69B9B8FF 00002000
	v_add_u32_e32 v221, 0x8400, v220                           // 000000002EB4: 69BBB8FF 00008400
	v_add_u32_e32 v222, 0x8400, v221                           // 000000002EBC: 69BDBAFF 00008400
	v_add_u32_e32 v223, 0x8400, v222                           // 000000002EC4: 69BFBCFF 00008400
	s_mul_i32 s62, s48, 0x100                                  // 000000002ECC: 923EFF30 00000100
	s_mul_hi_u32 s63, s39, s62                                 // 000000002ED4: 963F3E27
	s_add_u32 s21, s21, s63                                    // 000000002ED8: 80153F15
	s_mul_i32 s63, s39, s62                                    // 000000002EDC: 923F3E27
	s_add_u32 s20, s20, s63                                    // 000000002EE0: 80143F14
	s_addc_u32 s21, s21, 0                                     // 000000002EE4: 82158015
	s_add_u32 s63, s43, 31                                     // 000000002EE8: 803F9F2B
	s_lshr_b32 s63, s63, 5                                     // 000000002EEC: 8F3F853F
	s_lshl_b32 s63, s63, 5                                     // 000000002EF0: 8E3F853F
	s_sub_i32 s63, s63, s62                                    // 000000002EF4: 81BF3E3F
	s_cmp_lt_u32 s63, 0x100                                    // 000000002EF8: BF0AFF3F 00000100
	s_cselect_b32 s62, s63, 0x100                              // 000000002F00: 853EFF3F 00000100
	s_mul_i32 s22, s39, s62                                    // 000000002F08: 92163E27
	s_mov_b32 s23, 0x20000                                     // 000000002F0C: BE9700FF 00020000
	v_lshlrev_b32_e32 v224, 2, v0                              // 000000002F14: 25C00082
	s_mul_i32 s63, s46, 32                                     // 000000002F18: 923FA02E
	s_mul_i32 s63, s63, s39                                    // 000000002F1C: 923F273F
	v_add_u32_e32 v224, s63, v224                              // 000000002F20: 69C1C03F
	s_mul_i32 s63, 0x80, s39                                   // 000000002F24: 923F27FF 00000080
	v_add_u32_e32 v225, s63, v224                              // 000000002F2C: 69C3C03F
	s_mul_i32 s65, s46, 0x100                                  // 000000002F30: 9241FF2E 00000100
	s_add_i32 s65, s65, 0                                      // 000000002F38: 81418041
	v_lshlrev_b32_e32 v226, 2, v0                              // 000000002F3C: 25C40082
	v_add_u32_e32 v226, 0, v226                                // 000000002F40: 69C5C480
	s_lshr_b32 s38, s38, 1                                     // 000000002F44: 8F268126
	s_mul_i32 s62, s47, 0x80                                   // 000000002F48: 923EFF2F 00000080
	s_mul_hi_u32 s63, s38, s62                                 // 000000002F50: 963F3E26
	s_add_u32 s17, s17, s63                                    // 000000002F54: 80113F11
	s_mul_i32 s63, s38, s62                                    // 000000002F58: 923F3E26
	s_add_u32 s16, s16, s63                                    // 000000002F5C: 80103F10
	s_addc_u32 s17, s17, 0                                     // 000000002F60: 82118011
	s_sub_i32 s63, s44, s62                                    // 000000002F64: 81BF3E2C
	s_cmp_lt_u32 s63, 0x80                                     // 000000002F68: BF0AFF3F 00000080
	s_cselect_b32 s62, s63, 0x80                               // 000000002F70: 853EFF3F 00000080
	s_mul_i32 s18, s38, s62                                    // 000000002F78: 92123E26
	s_mov_b32 s19, 0x20000                                     // 000000002F7C: BE9300FF 00020000
	v_lshlrev_b32_e32 v227, 4, v0                              // 000000002F84: 25C60084
	s_mul_i32 s63, s46, 32                                     // 000000002F88: 923FA02E
	s_mul_i32 s62, s63, s38                                    // 000000002F8C: 923E263F
	v_add_u32_e32 v227, s62, v227                              // 000000002F90: 69C7C63E
	s_mul_i32 s62, 16, s38                                     // 000000002F94: 923E2690
	v_add_u32_e32 v228, s62, v227                              // 000000002F98: 69C9C63E
	s_mul_i32 s62, s47, 0x80                                   // 000000002F9C: 923EFF2F 00000080
	s_mul_hi_u32 s63, s40, s62                                 // 000000002FA4: 963F3E28
	s_add_u32 s25, s25, s63                                    // 000000002FA8: 80193F19
	s_mul_i32 s63, s40, s62                                    // 000000002FAC: 923F3E28
	s_add_u32 s24, s24, s63                                    // 000000002FB0: 80183F18
	s_addc_u32 s25, s25, 0                                     // 000000002FB4: 82198019
	s_sub_i32 s63, s44, s62                                    // 000000002FB8: 81BF3E2C
	s_cmp_lt_u32 s63, 0x80                                     // 000000002FBC: BF0AFF3F 00000080
	s_cselect_b32 s62, s63, 0x80                               // 000000002FC4: 853EFF3F 00000080
	s_mul_i32 s26, s40, s62                                    // 000000002FCC: 921A3E28
	s_mov_b32 s27, 0x20000                                     // 000000002FD0: BE9B00FF 00020000
	v_lshlrev_b32_e32 v229, 2, v0                              // 000000002FD8: 25CA0082
	s_mul_i32 s63, s46, 32                                     // 000000002FDC: 923FA02E
	s_mul_i32 s63, s63, s40                                    // 000000002FE0: 923F283F
	v_add_u32_e32 v229, s63, v229                              // 000000002FE4: 69CBCA3F
	s_mov_b32 s66, 0x80                                        // 000000002FE8: BEC200FF 00000080
	s_mov_b32 s67, 0x800                                       // 000000002FF0: BEC300FF 00000800
	s_mov_b32 s68, 0x100                                       // 000000002FF8: BEC400FF 00000100
	s_mov_b32 s69, 0x100                                       // 000000003000: BEC500FF 00000100
	s_mov_b32 s60, 0                                           // 000000003008: BEBC0080
	s_mov_b32 s61, s45                                         // 00000000300C: BEBD002D
	s_add_u32 m0, 0, s65                                       // 000000003010: 807C4180
	buffer_load_dword v224, s[20:23], 0 offen lds              // 000000003014: E0511000 800500E0
	v_accvgpr_write_b32 a0, 0                                  // 00000000301C: D3D94000 18000080
	v_accvgpr_write_b32 a1, 0                                  // 000000003024: D3D94001 18000080
	v_accvgpr_write_b32 a2, 0                                  // 00000000302C: D3D94002 18000080
	v_accvgpr_write_b32 a3, 0                                  // 000000003034: D3D94003 18000080
	v_accvgpr_write_b32 a4, 0                                  // 00000000303C: D3D94004 18000080
	v_accvgpr_write_b32 a5, 0                                  // 000000003044: D3D94005 18000080
	s_add_u32 m0, 0x400, s65                                   // 00000000304C: 807C41FF 00000400
	buffer_load_dword v225, s[20:23], 0 offen lds              // 000000003054: E0511000 800500E1
	v_accvgpr_write_b32 a6, 0                                  // 00000000305C: D3D94006 18000080
	v_accvgpr_write_b32 a7, 0                                  // 000000003064: D3D94007 18000080
	v_accvgpr_write_b32 a8, 0                                  // 00000000306C: D3D94008 18000080
	v_accvgpr_write_b32 a9, 0                                  // 000000003074: D3D94009 18000080
	v_accvgpr_write_b32 a10, 0                                 // 00000000307C: D3D9400A 18000080
	v_accvgpr_write_b32 a11, 0                                 // 000000003084: D3D9400B 18000080
	s_add_u32 m0, 0, s64                                       // 00000000308C: 807C4080
	buffer_load_dwordx4 v212, s[12:15], 0 offen lds            // 000000003090: E05D1000 800300D4
	v_accvgpr_write_b32 a12, 0                                 // 000000003098: D3D9400C 18000080
	v_accvgpr_write_b32 a13, 0                                 // 0000000030A0: D3D9400D 18000080
	v_accvgpr_write_b32 a14, 0                                 // 0000000030A8: D3D9400E 18000080
	v_accvgpr_write_b32 a15, 0                                 // 0000000030B0: D3D9400F 18000080
	v_accvgpr_write_b32 a16, 0                                 // 0000000030B8: D3D94010 18000080
	v_accvgpr_write_b32 a17, 0                                 // 0000000030C0: D3D94011 18000080
	s_add_u32 m0, 0x1080, s64                                  // 0000000030C8: 807C40FF 00001080
	buffer_load_dwordx4 v213, s[12:15], 0 offen lds            // 0000000030D0: E05D1000 800300D5
	v_accvgpr_write_b32 a18, 0                                 // 0000000030D8: D3D94012 18000080
	v_accvgpr_write_b32 a19, 0                                 // 0000000030E0: D3D94013 18000080
	v_accvgpr_write_b32 a20, 0                                 // 0000000030E8: D3D94014 18000080
	v_accvgpr_write_b32 a21, 0                                 // 0000000030F0: D3D94015 18000080
	v_accvgpr_write_b32 a22, 0                                 // 0000000030F8: D3D94016 18000080
	v_accvgpr_write_b32 a23, 0                                 // 000000003100: D3D94017 18000080
	s_add_u32 m0, 0x2100, s64                                  // 000000003108: 807C40FF 00002100
	buffer_load_dwordx4 v214, s[12:15], 0 offen lds            // 000000003110: E05D1000 800300D6
	v_accvgpr_write_b32 a24, 0                                 // 000000003118: D3D94018 18000080
	v_accvgpr_write_b32 a25, 0                                 // 000000003120: D3D94019 18000080
	v_accvgpr_write_b32 a26, 0                                 // 000000003128: D3D9401A 18000080
	v_accvgpr_write_b32 a27, 0                                 // 000000003130: D3D9401B 18000080
	v_accvgpr_write_b32 a28, 0                                 // 000000003138: D3D9401C 18000080
	v_accvgpr_write_b32 a29, 0                                 // 000000003140: D3D9401D 18000080
	s_add_u32 m0, 0x3180, s64                                  // 000000003148: 807C40FF 00003180
	buffer_load_dwordx4 v215, s[12:15], 0 offen lds            // 000000003150: E05D1000 800300D7
	v_accvgpr_write_b32 a30, 0                                 // 000000003158: D3D9401E 18000080
	v_accvgpr_write_b32 a31, 0                                 // 000000003160: D3D9401F 18000080
	v_accvgpr_write_b32 a32, 0                                 // 000000003168: D3D94020 18000080
	v_accvgpr_write_b32 a33, 0                                 // 000000003170: D3D94021 18000080
	v_accvgpr_write_b32 a34, 0                                 // 000000003178: D3D94022 18000080
	v_accvgpr_write_b32 a35, 0                                 // 000000003180: D3D94023 18000080
	s_add_u32 m0, 0x4200, s64                                  // 000000003188: 807C40FF 00004200
	buffer_load_dwordx4 v216, s[12:15], 0 offen lds            // 000000003190: E05D1000 800300D8
	v_accvgpr_write_b32 a36, 0                                 // 000000003198: D3D94024 18000080
	v_accvgpr_write_b32 a37, 0                                 // 0000000031A0: D3D94025 18000080
	v_accvgpr_write_b32 a38, 0                                 // 0000000031A8: D3D94026 18000080
	v_accvgpr_write_b32 a39, 0                                 // 0000000031B0: D3D94027 18000080
	v_accvgpr_write_b32 a40, 0                                 // 0000000031B8: D3D94028 18000080
	v_accvgpr_write_b32 a41, 0                                 // 0000000031C0: D3D94029 18000080
	s_add_u32 m0, 0x5280, s64                                  // 0000000031C8: 807C40FF 00005280
	buffer_load_dwordx4 v217, s[12:15], 0 offen lds            // 0000000031D0: E05D1000 800300D9
	v_accvgpr_write_b32 a42, 0                                 // 0000000031D8: D3D9402A 18000080
	v_accvgpr_write_b32 a43, 0                                 // 0000000031E0: D3D9402B 18000080
	v_accvgpr_write_b32 a44, 0                                 // 0000000031E8: D3D9402C 18000080
	v_accvgpr_write_b32 a45, 0                                 // 0000000031F0: D3D9402D 18000080
	v_accvgpr_write_b32 a46, 0                                 // 0000000031F8: D3D9402E 18000080
	v_accvgpr_write_b32 a47, 0                                 // 000000003200: D3D9402F 18000080
	s_add_u32 m0, 0x6300, s64                                  // 000000003208: 807C40FF 00006300
	buffer_load_dwordx4 v218, s[12:15], 0 offen lds            // 000000003210: E05D1000 800300DA
	v_accvgpr_write_b32 a48, 0                                 // 000000003218: D3D94030 18000080
	v_accvgpr_write_b32 a49, 0                                 // 000000003220: D3D94031 18000080
	v_accvgpr_write_b32 a50, 0                                 // 000000003228: D3D94032 18000080
	v_accvgpr_write_b32 a51, 0                                 // 000000003230: D3D94033 18000080
	v_accvgpr_write_b32 a52, 0                                 // 000000003238: D3D94034 18000080
	v_accvgpr_write_b32 a53, 0                                 // 000000003240: D3D94035 18000080
	s_add_u32 m0, 0x7380, s64                                  // 000000003248: 807C40FF 00007380
	buffer_load_dwordx4 v219, s[12:15], 0 offen lds            // 000000003250: E05D1000 800300DB
	v_accvgpr_write_b32 a54, 0                                 // 000000003258: D3D94036 18000080
	v_accvgpr_write_b32 a55, 0                                 // 000000003260: D3D94037 18000080
	v_accvgpr_write_b32 a56, 0                                 // 000000003268: D3D94038 18000080
	v_accvgpr_write_b32 a57, 0                                 // 000000003270: D3D94039 18000080
	v_accvgpr_write_b32 a58, 0                                 // 000000003278: D3D9403A 18000080
	v_accvgpr_write_b32 a59, 0                                 // 000000003280: D3D9403B 18000080
	buffer_load_dwordx4 v[136:139], v227, s[16:19], 0 offen    // 000000003288: E05C1000 800488E3
	v_accvgpr_write_b32 a60, 0                                 // 000000003290: D3D9403C 18000080
	v_accvgpr_write_b32 a61, 0                                 // 000000003298: D3D9403D 18000080
	v_accvgpr_write_b32 a62, 0                                 // 0000000032A0: D3D9403E 18000080
	v_accvgpr_write_b32 a63, 0                                 // 0000000032A8: D3D9403F 18000080
	v_accvgpr_write_b32 a64, 0                                 // 0000000032B0: D3D94040 18000080
	v_accvgpr_write_b32 a65, 0                                 // 0000000032B8: D3D94041 18000080
	buffer_load_dwordx4 v[140:143], v228, s[16:19], 0 offen    // 0000000032C0: E05C1000 80048CE4
	v_accvgpr_write_b32 a66, 0                                 // 0000000032C8: D3D94042 18000080
	v_accvgpr_write_b32 a67, 0                                 // 0000000032D0: D3D94043 18000080
	v_accvgpr_write_b32 a68, 0                                 // 0000000032D8: D3D94044 18000080
	v_accvgpr_write_b32 a69, 0                                 // 0000000032E0: D3D94045 18000080
	v_accvgpr_write_b32 a70, 0                                 // 0000000032E8: D3D94046 18000080
	v_accvgpr_write_b32 a71, 0                                 // 0000000032F0: D3D94047 18000080
	buffer_load_dwordx4 v[144:147], v227, s[16:19], 0 offen offset:1024// 0000000032F8: E05C1400 800490E3
	v_accvgpr_write_b32 a72, 0                                 // 000000003300: D3D94048 18000080
	v_accvgpr_write_b32 a73, 0                                 // 000000003308: D3D94049 18000080
	v_accvgpr_write_b32 a74, 0                                 // 000000003310: D3D9404A 18000080
	v_accvgpr_write_b32 a75, 0                                 // 000000003318: D3D9404B 18000080
	v_accvgpr_write_b32 a76, 0                                 // 000000003320: D3D9404C 18000080
	v_accvgpr_write_b32 a77, 0                                 // 000000003328: D3D9404D 18000080
	buffer_load_dwordx4 v[148:151], v228, s[16:19], 0 offen offset:1024// 000000003330: E05C1400 800494E4
	v_accvgpr_write_b32 a78, 0                                 // 000000003338: D3D9404E 18000080
	v_accvgpr_write_b32 a79, 0                                 // 000000003340: D3D9404F 18000080
	v_accvgpr_write_b32 a80, 0                                 // 000000003348: D3D94050 18000080
	v_accvgpr_write_b32 a81, 0                                 // 000000003350: D3D94051 18000080
	v_accvgpr_write_b32 a82, 0                                 // 000000003358: D3D94052 18000080
	v_accvgpr_write_b32 a83, 0                                 // 000000003360: D3D94053 18000080
	buffer_load_dword v208, v229, s[24:27], 0 offen            // 000000003368: E0501000 8006D0E5
	v_accvgpr_write_b32 a84, 0                                 // 000000003370: D3D94054 18000080
	v_accvgpr_write_b32 a85, 0                                 // 000000003378: D3D94055 18000080
	v_accvgpr_write_b32 a86, 0                                 // 000000003380: D3D94056 18000080
	v_accvgpr_write_b32 a87, 0                                 // 000000003388: D3D94057 18000080
	v_accvgpr_write_b32 a88, 0                                 // 000000003390: D3D94058 18000080
	v_accvgpr_write_b32 a89, 0                                 // 000000003398: D3D94059 18000080
	s_add_u32 s62, 0x100, s60                                  // 0000000033A0: 803E3CFF 00000100
	s_cmp_lt_u32 s62, s61                                      // 0000000033A8: BF0A3D3E
	s_cselect_b32 s66, s66, 0                                  // 0000000033AC: 85428042
	s_cselect_b32 s68, s68, 0                                  // 0000000033B0: 85448044
	s_add_u32 s12, s12, s66                                    // 0000000033B4: 800C420C
	s_addc_u32 s13, 0, s13                                     // 0000000033B8: 820D0D80
	s_sub_u32 s14, s14, s66                                    // 0000000033BC: 808E420E
	s_add_u32 s20, s20, s68                                    // 0000000033C0: 80144414
	s_addc_u32 s21, 0, s21                                     // 0000000033C4: 82151580
	s_sub_u32 s22, s22, s68                                    // 0000000033C8: 80964416
	s_add_u32 s63, 0x100, s60                                  // 0000000033CC: 803F3CFF 00000100
	s_cmp_lt_u32 s63, s61                                      // 0000000033D4: BF0A3D3F
	s_cselect_b32 s67, s67, 0                                  // 0000000033D8: 85438043
	s_cselect_b32 s69, s69, 0                                  // 0000000033DC: 85458045
	s_add_u32 s16, s16, s67                                    // 0000000033E0: 80104310
	s_addc_u32 s17, 0, s17                                     // 0000000033E4: 82111180
	s_sub_u32 s18, s18, s67                                    // 0000000033E8: 80924312
	s_add_u32 s24, s24, s69                                    // 0000000033EC: 80184518
	s_addc_u32 s25, 0, s25                                     // 0000000033F0: 82191980
	s_sub_u32 s26, s26, s69                                    // 0000000033F4: 809A451A
	s_add_u32 m0, 0x800, s65                                   // 0000000033F8: 807C41FF 00000800
	buffer_load_dword v224, s[20:23], 0 offen lds              // 000000003400: E0511000 800500E0
	v_accvgpr_write_b32 a90, 0                                 // 000000003408: D3D9405A 18000080
	v_accvgpr_write_b32 a91, 0                                 // 000000003410: D3D9405B 18000080
	v_accvgpr_write_b32 a92, 0                                 // 000000003418: D3D9405C 18000080
	v_accvgpr_write_b32 a93, 0                                 // 000000003420: D3D9405D 18000080
	v_accvgpr_write_b32 a94, 0                                 // 000000003428: D3D9405E 18000080
	v_accvgpr_write_b32 a95, 0                                 // 000000003430: D3D9405F 18000080
	s_add_u32 m0, 0xc00, s65                                   // 000000003438: 807C41FF 00000C00
	buffer_load_dword v225, s[20:23], 0 offen lds              // 000000003440: E0511000 800500E1
	v_accvgpr_write_b32 a96, 0                                 // 000000003448: D3D94060 18000080
	v_accvgpr_write_b32 a97, 0                                 // 000000003450: D3D94061 18000080
	v_accvgpr_write_b32 a98, 0                                 // 000000003458: D3D94062 18000080
	v_accvgpr_write_b32 a99, 0                                 // 000000003460: D3D94063 18000080
	v_accvgpr_write_b32 a100, 0                                // 000000003468: D3D94064 18000080
	v_accvgpr_write_b32 a101, 0                                // 000000003470: D3D94065 18000080
	s_add_u32 m0, 0x8400, s64                                  // 000000003478: 807C40FF 00008400
	buffer_load_dwordx4 v212, s[12:15], 0 offen lds            // 000000003480: E05D1000 800300D4
	v_accvgpr_write_b32 a102, 0                                // 000000003488: D3D94066 18000080
	v_accvgpr_write_b32 a103, 0                                // 000000003490: D3D94067 18000080
	v_accvgpr_write_b32 a104, 0                                // 000000003498: D3D94068 18000080
	v_accvgpr_write_b32 a105, 0                                // 0000000034A0: D3D94069 18000080
	v_accvgpr_write_b32 a106, 0                                // 0000000034A8: D3D9406A 18000080
	v_accvgpr_write_b32 a107, 0                                // 0000000034B0: D3D9406B 18000080
	s_add_u32 m0, 0x9480, s64                                  // 0000000034B8: 807C40FF 00009480
	buffer_load_dwordx4 v213, s[12:15], 0 offen lds            // 0000000034C0: E05D1000 800300D5
	v_accvgpr_write_b32 a108, 0                                // 0000000034C8: D3D9406C 18000080
	v_accvgpr_write_b32 a109, 0                                // 0000000034D0: D3D9406D 18000080
	v_accvgpr_write_b32 a110, 0                                // 0000000034D8: D3D9406E 18000080
	v_accvgpr_write_b32 a111, 0                                // 0000000034E0: D3D9406F 18000080
	v_accvgpr_write_b32 a112, 0                                // 0000000034E8: D3D94070 18000080
	v_accvgpr_write_b32 a113, 0                                // 0000000034F0: D3D94071 18000080
	s_add_u32 m0, 0xa500, s64                                  // 0000000034F8: 807C40FF 0000A500
	buffer_load_dwordx4 v214, s[12:15], 0 offen lds            // 000000003500: E05D1000 800300D6
	v_accvgpr_write_b32 a114, 0                                // 000000003508: D3D94072 18000080
	v_accvgpr_write_b32 a115, 0                                // 000000003510: D3D94073 18000080
	v_accvgpr_write_b32 a116, 0                                // 000000003518: D3D94074 18000080
	v_accvgpr_write_b32 a117, 0                                // 000000003520: D3D94075 18000080
	v_accvgpr_write_b32 a118, 0                                // 000000003528: D3D94076 18000080
	v_accvgpr_write_b32 a119, 0                                // 000000003530: D3D94077 18000080
	s_add_u32 m0, 0xb580, s64                                  // 000000003538: 807C40FF 0000B580
	buffer_load_dwordx4 v215, s[12:15], 0 offen lds            // 000000003540: E05D1000 800300D7
	v_accvgpr_write_b32 a120, 0                                // 000000003548: D3D94078 18000080
	v_accvgpr_write_b32 a121, 0                                // 000000003550: D3D94079 18000080
	v_accvgpr_write_b32 a122, 0                                // 000000003558: D3D9407A 18000080
	v_accvgpr_write_b32 a123, 0                                // 000000003560: D3D9407B 18000080
	v_accvgpr_write_b32 a124, 0                                // 000000003568: D3D9407C 18000080
	v_accvgpr_write_b32 a125, 0                                // 000000003570: D3D9407D 18000080
	s_add_u32 m0, 0xc600, s64                                  // 000000003578: 807C40FF 0000C600
	buffer_load_dwordx4 v216, s[12:15], 0 offen lds            // 000000003580: E05D1000 800300D8
	v_accvgpr_write_b32 a126, 0                                // 000000003588: D3D9407E 18000080
	v_accvgpr_write_b32 a127, 0                                // 000000003590: D3D9407F 18000080
	s_add_u32 m0, 0xd680, s64                                  // 000000003598: 807C40FF 0000D680
	buffer_load_dwordx4 v217, s[12:15], 0 offen lds            // 0000000035A0: E05D1000 800300D9
	s_add_u32 m0, 0xe700, s64                                  // 0000000035A8: 807C40FF 0000E700
	buffer_load_dwordx4 v218, s[12:15], 0 offen lds            // 0000000035B0: E05D1000 800300DA
	s_add_u32 m0, 0xf780, s64                                  // 0000000035B8: 807C40FF 0000F780
	buffer_load_dwordx4 v219, s[12:15], 0 offen lds            // 0000000035C0: E05D1000 800300DB
	buffer_load_dwordx4 v[152:155], v227, s[16:19], 0 offen    // 0000000035C8: E05C1000 800498E3
	buffer_load_dwordx4 v[156:159], v228, s[16:19], 0 offen    // 0000000035D0: E05C1000 80049CE4
	buffer_load_dwordx4 v[160:163], v227, s[16:19], 0 offen offset:1024// 0000000035D8: E05C1400 8004A0E3
	buffer_load_dwordx4 v[164:167], v228, s[16:19], 0 offen offset:1024// 0000000035E0: E05C1400 8004A4E4
	buffer_load_dword v209, v229, s[24:27], 0 offen            // 0000000035E8: E0501000 8006D1E5
	s_add_u32 s62, 0x200, s60                                  // 0000000035F0: 803E3CFF 00000200
	s_cmp_lt_u32 s62, s61                                      // 0000000035F8: BF0A3D3E
	s_cselect_b32 s66, s66, 0                                  // 0000000035FC: 85428042
	s_cselect_b32 s68, s68, 0                                  // 000000003600: 85448044
	s_add_u32 s12, s12, s66                                    // 000000003604: 800C420C
	s_addc_u32 s13, 0, s13                                     // 000000003608: 820D0D80
	s_sub_u32 s14, s14, s66                                    // 00000000360C: 808E420E
	s_add_u32 s20, s20, s68                                    // 000000003610: 80144414
	s_addc_u32 s21, 0, s21                                     // 000000003614: 82151580
	s_sub_u32 s22, s22, s68                                    // 000000003618: 80964416
	s_add_u32 s63, 0x200, s60                                  // 00000000361C: 803F3CFF 00000200
	s_cmp_lt_u32 s63, s61                                      // 000000003624: BF0A3D3F
	s_cselect_b32 s67, s67, 0                                  // 000000003628: 85438043
	s_cselect_b32 s69, s69, 0                                  // 00000000362C: 85458045
	s_add_u32 s16, s16, s67                                    // 000000003630: 80104310
	s_addc_u32 s17, 0, s17                                     // 000000003634: 82111180
	s_sub_u32 s18, s18, s67                                    // 000000003638: 80924312
	s_add_u32 s24, s24, s69                                    // 00000000363C: 80184518
	s_addc_u32 s25, 0, s25                                     // 000000003640: 82191980
	s_sub_u32 s26, s26, s69                                    // 000000003644: 809A451A
	s_add_u32 m0, 0x1000, s65                                  // 000000003648: 807C41FF 00001000
	buffer_load_dword v224, s[20:23], 0 offen lds              // 000000003650: E0511000 800500E0
	s_add_u32 m0, 0x1400, s65                                  // 000000003658: 807C41FF 00001400
	buffer_load_dword v225, s[20:23], 0 offen lds              // 000000003660: E0511000 800500E1
	s_add_u32 m0, 0x10800, s64                                 // 000000003668: 807C40FF 00010800
	buffer_load_dwordx4 v212, s[12:15], 0 offen lds            // 000000003670: E05D1000 800300D4
	s_add_u32 m0, 0x11880, s64                                 // 000000003678: 807C40FF 00011880
	buffer_load_dwordx4 v213, s[12:15], 0 offen lds            // 000000003680: E05D1000 800300D5
	s_add_u32 m0, 0x12900, s64                                 // 000000003688: 807C40FF 00012900
	buffer_load_dwordx4 v214, s[12:15], 0 offen lds            // 000000003690: E05D1000 800300D6
	s_add_u32 m0, 0x13980, s64                                 // 000000003698: 807C40FF 00013980
	buffer_load_dwordx4 v215, s[12:15], 0 offen lds            // 0000000036A0: E05D1000 800300D7
	s_add_u32 m0, 0x14a00, s64                                 // 0000000036A8: 807C40FF 00014A00
	buffer_load_dwordx4 v216, s[12:15], 0 offen lds            // 0000000036B0: E05D1000 800300D8
	s_add_u32 m0, 0x15a80, s64                                 // 0000000036B8: 807C40FF 00015A80
	buffer_load_dwordx4 v217, s[12:15], 0 offen lds            // 0000000036C0: E05D1000 800300D9
	s_add_u32 m0, 0x16b00, s64                                 // 0000000036C8: 807C40FF 00016B00
	buffer_load_dwordx4 v218, s[12:15], 0 offen lds            // 0000000036D0: E05D1000 800300DA
	s_add_u32 m0, 0x17b80, s64                                 // 0000000036D8: 807C40FF 00017B80
	buffer_load_dwordx4 v219, s[12:15], 0 offen lds            // 0000000036E0: E05D1000 800300DB
	buffer_load_dwordx4 v[168:171], v227, s[16:19], 0 offen    // 0000000036E8: E05C1000 8004A8E3
	buffer_load_dwordx4 v[172:175], v228, s[16:19], 0 offen    // 0000000036F0: E05C1000 8004ACE4
	buffer_load_dwordx4 v[176:179], v227, s[16:19], 0 offen offset:1024// 0000000036F8: E05C1400 8004B0E3
	buffer_load_dwordx4 v[180:183], v228, s[16:19], 0 offen offset:1024// 000000003700: E05C1400 8004B4E4
	buffer_load_dword v210, v229, s[24:27], 0 offen            // 000000003708: E0501000 8006D2E5
	s_add_u32 s62, 0x300, s60                                  // 000000003710: 803E3CFF 00000300
	s_cmp_lt_u32 s62, s61                                      // 000000003718: BF0A3D3E
	s_cselect_b32 s66, s66, 0                                  // 00000000371C: 85428042
	s_cselect_b32 s68, s68, 0                                  // 000000003720: 85448044
	s_add_u32 s12, s12, s66                                    // 000000003724: 800C420C
	s_addc_u32 s13, 0, s13                                     // 000000003728: 820D0D80
	s_sub_u32 s14, s14, s66                                    // 00000000372C: 808E420E
	s_add_u32 s20, s20, s68                                    // 000000003730: 80144414
	s_addc_u32 s21, 0, s21                                     // 000000003734: 82151580
	s_sub_u32 s22, s22, s68                                    // 000000003738: 80964416
	s_add_u32 s63, 0x300, s60                                  // 00000000373C: 803F3CFF 00000300
	s_cmp_lt_u32 s63, s61                                      // 000000003744: BF0A3D3F
	s_cselect_b32 s67, s67, 0                                  // 000000003748: 85438043
	s_cselect_b32 s69, s69, 0                                  // 00000000374C: 85458045
	s_add_u32 s16, s16, s67                                    // 000000003750: 80104310
	s_addc_u32 s17, 0, s17                                     // 000000003754: 82111180
	s_sub_u32 s18, s18, s67                                    // 000000003758: 80924312
	s_add_u32 s24, s24, s69                                    // 00000000375C: 80184518
	s_addc_u32 s25, 0, s25                                     // 000000003760: 82191980
	s_sub_u32 s26, s26, s69                                    // 000000003764: 809A451A
	s_waitcnt vmcnt(41)                                        // 000000003768: BF8C8F79
	s_barrier                                                  // 00000000376C: BF8A0000
	ds_read_b128 v[8:11], v220                                 // 000000003770: D9FE0000 080000DC
	ds_read_b128 v[16:19], v220 offset:64                      // 000000003778: D9FE0040 100000DC
	ds_read_b128 v[12:15], v220 offset:512                     // 000000003780: D9FE0200 0C0000DC
	ds_read_b128 v[20:23], v220 offset:576                     // 000000003788: D9FE0240 140000DC
	ds_read_b32 v200, v226                                     // 000000003790: D86C0000 C80000E2
	ds_read_b128 v[24:27], v220 offset:4224                    // 000000003798: D9FE1080 180000DC
	ds_read_b128 v[32:35], v220 offset:4288                    // 0000000037A0: D9FE10C0 200000DC
	ds_read_b128 v[28:31], v220 offset:4736                    // 0000000037A8: D9FE1280 1C0000DC
	ds_read_b128 v[36:39], v220 offset:4800                    // 0000000037B0: D9FE12C0 240000DC
	ds_read_b32 v201, v226 offset:256                          // 0000000037B8: D86C0100 C90000E2
	s_nop 0                                                    // 0000000037C0: BF800000
	s_nop 0                                                    // 0000000037C4: BF800000
	s_nop 0                                                    // 0000000037C8: BF800000
	s_nop 0                                                    // 0000000037CC: BF800000
	s_nop 0                                                    // 0000000037D0: BF800000
	s_lshl_b32 s36, s36, 1                                     // 0000000037D4: 8E248124
	s_mul_i32 s62, s48, 0x100                                  // 0000000037D8: 923EFF30 00000100
	s_mul_hi_u32 s63, s36, s62                                 // 0000000037E0: 963F3E24
	s_add_u32 s5, s5, s63                                      // 0000000037E4: 80053F05
	s_mul_i32 s63, s36, s62                                    // 0000000037E8: 923F3E24
	s_add_u32 s4, s4, s63                                      // 0000000037EC: 80043F04
	s_addc_u32 s5, s5, 0                                       // 0000000037F0: 82058005
	s_mul_i32 s63, s47, 0x80                                   // 0000000037F4: 923FFF2F 00000080
	s_lshl_b32 s63, s63, 1                                     // 0000000037FC: 8E3F813F
	s_add_u32 s4, s4, s63                                      // 000000003800: 80043F04
	s_addc_u32 s5, s5, 0                                       // 000000003804: 82058005
	s_sub_i32 s62, s43, s62                                    // 000000003808: 81BE3E2B
	s_cmp_lt_u32 s62, 0x100                                    // 00000000380C: BF0AFF3E 00000100
	s_cselect_b32 s62, s62, 0x100                              // 000000003814: 853EFF3E 00000100
	s_mul_i32 s62, s36, s62                                    // 00000000381C: 923E3E24
	s_sub_i32 s6, s62, s63                                     // 000000003820: 81863F3E
	s_mov_b32 s7, 0x20000                                      // 000000003824: BE8700FF 00020000
	s_mul_i32 s62, s46, 32                                     // 00000000382C: 923EA02E
	s_lshl_b32 s62, s62, 1                                     // 000000003830: 8E3E813E
	v_lshrrev_b32_e32 v4, 5, v0                                // 000000003834: 20080085
	v_mul_i32_i24_e32 v4, 16, v4                               // 000000003838: 0C080890
	v_lshrrev_b32_e32 v5, 4, v0                                // 00000000383C: 200A0084
	v_and_b32_e32 v5, 1, v5                                    // 000000003840: 260A0A81
	v_mul_i32_i24_e32 v5, 32, v5                               // 000000003844: 0C0A0AA0
	v_add_u32_e32 v4, v4, v5                                   // 000000003848: 68080B04
	v_and_b32_e32 v5, 15, v0                                   // 00000000384C: 260A008F
	v_mul_lo_u32 v230, s36, v5                                 // 000000003850: D28500E6 00020A24
	v_add_u32_e32 v230, s62, v230                              // 000000003858: 69CDCC3E
	v_add_u32_e32 v230, v4, v230                               // 00000000385C: 69CDCD04
	s_cmp_lt_i32 s46, 2                                        // 000000003860: BF04822E
	s_cbranch_scc0 label_09AD                                  // 000000003864: BF840693

0000000000003868 <label_031A>:
	s_waitcnt vmcnt(30) lgkmcnt(5)                             // 000000003868: BF8C457E
	s_barrier                                                  // 00000000386C: BF8A0000
	v_mfma_scale_f32_16x16x128_f8f6f4 a[0:3], v[136:139], v[8:11], a[0:3], v208, v200 op_sel_hi:[0,0,0] cbsz:4 blgp:4// 000000003870: D3AC6000 000391D0 D3AD8C00 84021188
	ds_read_b128 v[40:43], v220 offset:8448                    // 000000003880: D9FE2100 280000DC
	v_mfma_scale_f32_16x16x128_f8f6f4 a[4:7], v[136:139], v[12:15], a[4:7], v208, v200 op_sel_hi:[0,0,0] cbsz:4 blgp:4// 000000003888: D3AC7000 000391D0 D3AD8C04 84121988
	s_add_u32 m0, 0x1800, s65                                  // 000000003898: 807C41FF 00001800
	buffer_load_dword v224, s[20:23], 0 offen lds              // 0000000038A0: E0511000 800500E0
	v_mfma_scale_f32_16x16x128_f8f6f4 a[8:11], v[140:143], v[8:11], a[8:11], v208, v200 op_sel_hi:[0,0,0] cbsz:4 blgp:4// 0000000038A8: D3AC6800 000391D0 D3AD8C08 8422118C
	ds_read_b128 v[48:51], v220 offset:8512                    // 0000000038B8: D9FE2140 300000DC
	v_mfma_scale_f32_16x16x128_f8f6f4 a[12:15], v[140:143], v[12:15], a[12:15], v208, v200 op_sel_hi:[0,0,0] cbsz:4 blgp:4// 0000000038C0: D3AC7800 000391D0 D3AD8C0C 8432198C
	v_mfma_scale_f32_16x16x128_f8f6f4 a[0:3], v[144:147], v[16:19], a[0:3], v208, v200 op_sel_hi:[0,0,0] cbsz:4 blgp:4// 0000000038D0: D3AC6000 180391D0 D3AD8C00 84022190
	ds_read_b128 v[44:47], v220 offset:8960                    // 0000000038E0: D9FE2300 2C0000DC
	v_mfma_scale_f32_16x16x128_f8f6f4 a[4:7], v[144:147], v[20:23], a[4:7], v208, v200 op_sel_hi:[0,0,0] cbsz:4 blgp:4// 0000000038E8: D3AC7000 180391D0 D3AD8C04 84122990
	s_add_u32 m0, 0x1c00, s65                                  // 0000000038F8: 807C41FF 00001C00
	buffer_load_dword v225, s[20:23], 0 offen lds              // 000000003900: E0511000 800500E1
	v_mfma_scale_f32_16x16x128_f8f6f4 a[8:11], v[148:151], v[16:19], a[8:11], v208, v200 op_sel_hi:[0,0,0] cbsz:4 blgp:4// 000000003908: D3AC6800 180391D0 D3AD8C08 84222194
	ds_read_b128 v[52:55], v220 offset:9024                    // 000000003918: D9FE2340 340000DC
	v_mfma_scale_f32_16x16x128_f8f6f4 a[12:15], v[148:151], v[20:23], a[12:15], v208, v200 op_sel_hi:[0,0,0] cbsz:4 blgp:4// 000000003920: D3AC7800 180391D0 D3AD8C0C 84322994
	ds_read_b32 v202, v226 offset:512                          // 000000003930: D86C0200 CA0000E2
	s_waitcnt lgkmcnt(5)                                       // 000000003938: BF8CC57F
	v_mfma_scale_f32_16x16x128_f8f6f4 a[16:19], v[136:139], v[24:27], a[16:19], v208, v201 op_sel_hi:[0,0,0] cbsz:4 blgp:4// 00000000393C: D3AC6000 000393D0 D3AD8C10 84423188
	ds_read_b128 v[56:59], v220 offset:12672                   // 00000000394C: D9FE3180 380000DC
	v_mfma_scale_f32_16x16x128_f8f6f4 a[20:23], v[136:139], v[28:31], a[20:23], v208, v201 op_sel_hi:[0,0,0] cbsz:4 blgp:4// 000000003954: D3AC7000 000393D0 D3AD8C14 84523988
	s_add_u32 m0, 0x18c00, s64                                 // 000000003964: 807C40FF 00018C00
	buffer_load_dwordx4 v212, s[12:15], 0 offen lds            // 00000000396C: E05D1000 800300D4
	v_mfma_scale_f32_16x16x128_f8f6f4 a[24:27], v[140:143], v[24:27], a[24:27], v208, v201 op_sel_hi:[0,0,0] cbsz:4 blgp:4// 000000003974: D3AC6800 000393D0 D3AD8C18 8462318C
	ds_read_b128 v[64:67], v220 offset:12736                   // 000000003984: D9FE31C0 400000DC
	v_mfma_scale_f32_16x16x128_f8f6f4 a[28:31], v[140:143], v[28:31], a[28:31], v208, v201 op_sel_hi:[0,0,0] cbsz:4 blgp:4// 00000000398C: D3AC7800 000393D0 D3AD8C1C 8472398C
	v_mfma_scale_f32_16x16x128_f8f6f4 a[16:19], v[144:147], v[32:35], a[16:19], v208, v201 op_sel_hi:[0,0,0] cbsz:4 blgp:4// 00000000399C: D3AC6000 180393D0 D3AD8C10 84424190
	ds_read_b128 v[60:63], v220 offset:13184                   // 0000000039AC: D9FE3380 3C0000DC
	v_mfma_scale_f32_16x16x128_f8f6f4 a[20:23], v[144:147], v[36:39], a[20:23], v208, v201 op_sel_hi:[0,0,0] cbsz:4 blgp:4// 0000000039B4: D3AC7000 180393D0 D3AD8C14 84524990
	s_add_u32 m0, 0x19c80, s64                                 // 0000000039C4: 807C40FF 00019C80
	buffer_load_dwordx4 v213, s[12:15], 0 offen lds            // 0000000039CC: E05D1000 800300D5
	v_mfma_scale_f32_16x16x128_f8f6f4 a[24:27], v[148:151], v[32:35], a[24:27], v208, v201 op_sel_hi:[0,0,0] cbsz:4 blgp:4// 0000000039D4: D3AC6800 180393D0 D3AD8C18 84624194
	ds_read_b128 v[68:71], v220 offset:13248                   // 0000000039E4: D9FE33C0 440000DC
	v_mfma_scale_f32_16x16x128_f8f6f4 a[28:31], v[148:151], v[36:39], a[28:31], v208, v201 op_sel_hi:[0,0,0] cbsz:4 blgp:4// 0000000039EC: D3AC7800 180393D0 D3AD8C1C 84724994
	ds_read_b32 v203, v226 offset:768                          // 0000000039FC: D86C0300 CB0000E2
	s_waitcnt lgkmcnt(5)                                       // 000000003A04: BF8CC57F
	v_mfma_scale_f32_16x16x128_f8f6f4 a[32:35], v[136:139], v[40:43], a[32:35], v208, v202 op_sel_hi:[0,0,0] cbsz:4 blgp:4// 000000003A08: D3AC6000 000395D0 D3AD8C20 84825188
	ds_read_b128 v[72:75], v220 offset:16896                   // 000000003A18: D9FE4200 480000DC
	v_mfma_scale_f32_16x16x128_f8f6f4 a[36:39], v[136:139], v[44:47], a[36:39], v208, v202 op_sel_hi:[0,0,0] cbsz:4 blgp:4// 000000003A20: D3AC7000 000395D0 D3AD8C24 84925988
	s_add_u32 m0, 0x1ad00, s64                                 // 000000003A30: 807C40FF 0001AD00
	buffer_load_dwordx4 v214, s[12:15], 0 offen lds            // 000000003A38: E05D1000 800300D6
	v_mfma_scale_f32_16x16x128_f8f6f4 a[40:43], v[140:143], v[40:43], a[40:43], v208, v202 op_sel_hi:[0,0,0] cbsz:4 blgp:4// 000000003A40: D3AC4800 000395D0 D3AD8C28 84A2518C
	ds_read_b128 v[80:83], v220 offset:16960                   // 000000003A50: D9FE4240 500000DC
	v_mfma_scale_f32_16x16x128_f8f6f4 a[44:47], v[140:143], v[44:47], a[44:47], v208, v202 op_sel_hi:[0,0,0] cbsz:4 blgp:4// 000000003A58: D3AC3800 000395D0 D3AD8C2C 84B2598C
	v_mfma_scale_f32_16x16x128_f8f6f4 a[32:35], v[144:147], v[48:51], a[32:35], v208, v202 op_sel_hi:[0,0,0] cbsz:4 blgp:4// 000000003A68: D3AC6000 180395D0 D3AD8C20 84826190
	ds_read_b128 v[76:79], v220 offset:17408                   // 000000003A78: D9FE4400 4C0000DC
	v_mfma_scale_f32_16x16x128_f8f6f4 a[36:39], v[144:147], v[52:55], a[36:39], v208, v202 op_sel_hi:[0,0,0] cbsz:4 blgp:4// 000000003A80: D3AC7000 180395D0 D3AD8C24 84926990
	s_add_u32 m0, 0x1bd80, s64                                 // 000000003A90: 807C40FF 0001BD80
	buffer_load_dwordx4 v215, s[12:15], 0 offen lds            // 000000003A98: E05D1000 800300D7
	v_mfma_scale_f32_16x16x128_f8f6f4 a[40:43], v[148:151], v[48:51], a[40:43], v208, v202 op_sel_hi:[0,0,0] cbsz:4 blgp:4// 000000003AA0: D3AC6800 180395D0 D3AD8C28 84A26194
	ds_read_b128 v[84:87], v220 offset:17472                   // 000000003AB0: D9FE4440 540000DC
	v_mfma_scale_f32_16x16x128_f8f6f4 a[44:47], v[148:151], v[52:55], a[44:47], v208, v202 op_sel_hi:[0,0,0] cbsz:4 blgp:4// 000000003AB8: D3AC7800 180395D0 D3AD8C2C 84B26994
	ds_read_b32 v204, v226 offset:1024                         // 000000003AC8: D86C0400 CC0000E2
	s_waitcnt lgkmcnt(5)                                       // 000000003AD0: BF8CC57F
	v_mfma_scale_f32_16x16x128_f8f6f4 a[48:51], v[136:139], v[56:59], a[48:51], v208, v203 op_sel_hi:[0,0,0] cbsz:4 blgp:4// 000000003AD4: D3AC6000 000397D0 D3AD8C30 84C27188
	ds_read_b128 v[88:91], v220 offset:21120                   // 000000003AE4: D9FE5280 580000DC
	v_mfma_scale_f32_16x16x128_f8f6f4 a[52:55], v[136:139], v[60:63], a[52:55], v208, v203 op_sel_hi:[0,0,0] cbsz:4 blgp:4// 000000003AEC: D3AC7000 000397D0 D3AD8C34 84D27988
	s_add_u32 m0, 0x1ce00, s64                                 // 000000003AFC: 807C40FF 0001CE00
	buffer_load_dwordx4 v216, s[12:15], 0 offen lds            // 000000003B04: E05D1000 800300D8
	v_mfma_scale_f32_16x16x128_f8f6f4 a[56:59], v[140:143], v[56:59], a[56:59], v208, v203 op_sel_hi:[0,0,0] cbsz:4 blgp:4// 000000003B0C: D3AC6800 000397D0 D3AD8C38 84E2718C
	ds_read_b128 v[96:99], v220 offset:21184                   // 000000003B1C: D9FE52C0 600000DC
	v_mfma_scale_f32_16x16x128_f8f6f4 a[60:63], v[140:143], v[60:63], a[60:63], v208, v203 op_sel_hi:[0,0,0] cbsz:4 blgp:4// 000000003B24: D3AC5800 000397D0 D3AD8C3C 84F2798C
	v_mfma_scale_f32_16x16x128_f8f6f4 a[48:51], v[144:147], v[64:67], a[48:51], v208, v203 op_sel_hi:[0,0,0] cbsz:4 blgp:4// 000000003B34: D3AC6000 180397D0 D3AD8C30 84C28190
	ds_read_b128 v[92:95], v220 offset:21632                   // 000000003B44: D9FE5480 5C0000DC
	v_mfma_scale_f32_16x16x128_f8f6f4 a[52:55], v[144:147], v[68:71], a[52:55], v208, v203 op_sel_hi:[0,0,0] cbsz:4 blgp:4// 000000003B4C: D3AC7000 180397D0 D3AD8C34 84D28990
	s_add_u32 m0, 0x1de80, s64                                 // 000000003B5C: 807C40FF 0001DE80
	buffer_load_dwordx4 v217, s[12:15], 0 offen lds            // 000000003B64: E05D1000 800300D9
	v_mfma_scale_f32_16x16x128_f8f6f4 a[56:59], v[148:151], v[64:67], a[56:59], v208, v203 op_sel_hi:[0,0,0] cbsz:4 blgp:4// 000000003B6C: D3AC6800 180397D0 D3AD8C38 84E28194
	ds_read_b128 v[100:103], v220 offset:21696                 // 000000003B7C: D9FE54C0 640000DC
	v_mfma_scale_f32_16x16x128_f8f6f4 a[60:63], v[148:151], v[68:71], a[60:63], v208, v203 op_sel_hi:[0,0,0] cbsz:4 blgp:4// 000000003B84: D3AC7800 180397D0 D3AD8C3C 84F28994
	ds_read_b32 v205, v226 offset:1280                         // 000000003B94: D86C0500 CD0000E2
	s_waitcnt lgkmcnt(5)                                       // 000000003B9C: BF8CC57F
	v_mfma_scale_f32_16x16x128_f8f6f4 a[64:67], v[136:139], v[72:75], a[64:67], v208, v204 op_sel_hi:[0,0,0] cbsz:4 blgp:4// 000000003BA0: D3AC6000 000399D0 D3AD8C40 85029188
	ds_read_b128 v[104:107], v220 offset:25344                 // 000000003BB0: D9FE6300 680000DC
	v_mfma_scale_f32_16x16x128_f8f6f4 a[68:71], v[136:139], v[76:79], a[68:71], v208, v204 op_sel_hi:[0,0,0] cbsz:4 blgp:4// 000000003BB8: D3AC7000 000399D0 D3AD8C44 85129988
	s_add_u32 m0, 0x1ef00, s64                                 // 000000003BC8: 807C40FF 0001EF00
	buffer_load_dwordx4 v218, s[12:15], 0 offen lds            // 000000003BD0: E05D1000 800300DA
	v_mfma_scale_f32_16x16x128_f8f6f4 a[72:75], v[140:143], v[72:75], a[72:75], v208, v204 op_sel_hi:[0,0,0] cbsz:4 blgp:4// 000000003BD8: D3AC6800 000399D0 D3AD8C48 8522918C
	ds_read_b128 v[112:115], v220 offset:25408                 // 000000003BE8: D9FE6340 700000DC
	v_mfma_scale_f32_16x16x128_f8f6f4 a[76:79], v[140:143], v[76:79], a[76:79], v208, v204 op_sel_hi:[0,0,0] cbsz:4 blgp:4// 000000003BF0: D3AC7800 000399D0 D3AD8C4C 8532998C
	v_mfma_scale_f32_16x16x128_f8f6f4 a[64:67], v[144:147], v[80:83], a[64:67], v208, v204 op_sel_hi:[0,0,0] cbsz:4 blgp:4// 000000003C00: D3AC4000 180399D0 D3AD8C40 8502A190
	ds_read_b128 v[108:111], v220 offset:25856                 // 000000003C10: D9FE6500 6C0000DC
	v_mfma_scale_f32_16x16x128_f8f6f4 a[68:71], v[144:147], v[84:87], a[68:71], v208, v204 op_sel_hi:[0,0,0] cbsz:4 blgp:4// 000000003C18: D3AC7000 180399D0 D3AD8C44 8512A990
	s_add_u32 m0, 0x1ff80, s64                                 // 000000003C28: 807C40FF 0001FF80
	buffer_load_dwordx4 v219, s[12:15], 0 offen lds            // 000000003C30: E05D1000 800300DB
	v_mfma_scale_f32_16x16x128_f8f6f4 a[72:75], v[148:151], v[80:83], a[72:75], v208, v204 op_sel_hi:[0,0,0] cbsz:4 blgp:4// 000000003C38: D3AC6800 180399D0 D3AD8C48 8522A194
	s_add_u32 s62, 0x400, s60                                  // 000000003C48: 803E3CFF 00000400
	ds_read_b128 v[116:119], v220 offset:25920                 // 000000003C50: D9FE6540 740000DC
	v_mfma_scale_f32_16x16x128_f8f6f4 a[76:79], v[148:151], v[84:87], a[76:79], v208, v204 op_sel_hi:[0,0,0] cbsz:4 blgp:4// 000000003C58: D3AC7800 180399D0 D3AD8C4C 8532A994
	s_cmp_lt_u32 s62, s61                                      // 000000003C68: BF0A3D3E
	s_cselect_b32 s66, s66, 0                                  // 000000003C6C: 85428042
	ds_read_b32 v206, v226 offset:1536                         // 000000003C70: D86C0600 CE0000E2
	s_waitcnt lgkmcnt(5)                                       // 000000003C78: BF8CC57F
	v_mfma_scale_f32_16x16x128_f8f6f4 a[80:83], v[136:139], v[88:91], a[80:83], v208, v205 op_sel_hi:[0,0,0] cbsz:4 blgp:4// 000000003C7C: D3AC6000 00039BD0 D3AD8C50 8542B188
	s_cselect_b32 s68, s68, 0                                  // 000000003C8C: 85448044
	ds_read_b128 v[120:123], v220 offset:29568                 // 000000003C90: D9FE7380 780000DC
	v_mfma_scale_f32_16x16x128_f8f6f4 a[84:87], v[136:139], v[92:95], a[84:87], v208, v205 op_sel_hi:[0,0,0] cbsz:4 blgp:4// 000000003C98: D3AC7000 00039BD0 D3AD8C54 8552B988
	s_add_u32 s12, s12, s66                                    // 000000003CA8: 800C420C
	buffer_load_dwordx4 v[184:187], v227, s[16:19], 0 offen    // 000000003CAC: E05C1000 8004B8E3
	v_mfma_scale_f32_16x16x128_f8f6f4 a[88:91], v[140:143], v[88:91], a[88:91], v208, v205 op_sel_hi:[0,0,0] cbsz:4 blgp:4// 000000003CB4: D3AC6800 00039BD0 D3AD8C58 8562B18C
	s_addc_u32 s13, 0, s13                                     // 000000003CC4: 820D0D80
	ds_read_b128 v[128:131], v220 offset:29632                 // 000000003CC8: D9FE73C0 800000DC
	v_mfma_scale_f32_16x16x128_f8f6f4 a[92:95], v[140:143], v[92:95], a[92:95], v208, v205 op_sel_hi:[0,0,0] cbsz:4 blgp:4// 000000003CD0: D3AC7800 00039BD0 D3AD8C5C 8572B98C
	s_sub_u32 s14, s14, s66                                    // 000000003CE0: 808E420E
	s_add_u32 s20, s20, s68                                    // 000000003CE4: 80144414
	v_mfma_scale_f32_16x16x128_f8f6f4 a[80:83], v[144:147], v[96:99], a[80:83], v208, v205 op_sel_hi:[0,0,0] cbsz:4 blgp:4// 000000003CE8: D3AC6000 18039BD0 D3AD8C50 8542C190
	s_addc_u32 s21, 0, s21                                     // 000000003CF8: 82151580
	ds_read_b128 v[124:127], v220 offset:30080                 // 000000003CFC: D9FE7580 7C0000DC
	v_mfma_scale_f32_16x16x128_f8f6f4 a[84:87], v[144:147], v[100:103], a[84:87], v208, v205 op_sel_hi:[0,0,0] cbsz:4 blgp:4// 000000003D04: D3AC7000 18039BD0 D3AD8C54 8552C990
	s_sub_u32 s22, s22, s68                                    // 000000003D14: 80964416
	buffer_load_dwordx4 v[188:191], v228, s[16:19], 0 offen    // 000000003D18: E05C1000 8004BCE4
	v_mfma_scale_f32_16x16x128_f8f6f4 a[88:91], v[148:151], v[96:99], a[88:91], v208, v205 op_sel_hi:[0,0,0] cbsz:4 blgp:4// 000000003D20: D3AC6800 18039BD0 D3AD8C58 8562C194
	s_add_u32 s63, 0x400, s60                                  // 000000003D30: 803F3CFF 00000400
	ds_read_b128 v[132:135], v220 offset:30144                 // 000000003D38: D9FE75C0 840000DC
	v_mfma_scale_f32_16x16x128_f8f6f4 a[92:95], v[148:151], v[100:103], a[92:95], v208, v205 op_sel_hi:[0,0,0] cbsz:4 blgp:4// 000000003D40: D3AC7800 18039BD0 D3AD8C5C 8572C994
	s_cmp_lt_u32 s63, s61                                      // 000000003D50: BF0A3D3F
	s_cselect_b32 s67, s67, 0                                  // 000000003D54: 85438043
	ds_read_b32 v207, v226 offset:1792                         // 000000003D58: D86C0700 CF0000E2
	s_waitcnt vmcnt(38) lgkmcnt(5)                             // 000000003D60: BF8C8576
	s_barrier                                                  // 000000003D64: BF8A0000
	v_mfma_scale_f32_16x16x128_f8f6f4 a[96:99], v[136:139], v[104:107], a[96:99], v208, v206 op_sel_hi:[0,0,0] cbsz:4 blgp:4// 000000003D68: D3AC6000 00039DD0 D3AD8C60 8582D188
	s_cselect_b32 s69, s69, 0                                  // 000000003D78: 85458045
	ds_read_b128 v[8:11], v221                                 // 000000003D7C: D9FE0000 080000DD
	v_mfma_scale_f32_16x16x128_f8f6f4 a[100:103], v[136:139], v[108:111], a[100:103], v208, v206 op_sel_hi:[0,0,0] cbsz:4 blgp:4// 000000003D84: D3AC7000 00039DD0 D3AD8C64 8592D988
	buffer_load_dwordx4 v[192:195], v227, s[16:19], 0 offen offset:1024// 000000003D94: E05C1400 8004C0E3
	v_mfma_scale_f32_16x16x128_f8f6f4 a[104:107], v[140:143], v[104:107], a[104:107], v208, v206 op_sel_hi:[0,0,0] cbsz:4 blgp:4// 000000003D9C: D3AC6800 00039DD0 D3AD8C68 85A2D18C
	ds_read_b128 v[16:19], v221 offset:64                      // 000000003DAC: D9FE0040 100000DD
	v_mfma_scale_f32_16x16x128_f8f6f4 a[108:111], v[140:143], v[108:111], a[108:111], v208, v206 op_sel_hi:[0,0,0] cbsz:4 blgp:4// 000000003DB4: D3AC7800 00039DD0 D3AD8C6C 85B2D98C
	v_mfma_scale_f32_16x16x128_f8f6f4 a[96:99], v[144:147], v[112:115], a[96:99], v208, v206 op_sel_hi:[0,0,0] cbsz:4 blgp:4// 000000003DC4: D3AC6000 18039DD0 D3AD8C60 8582E190
	ds_read_b128 v[12:15], v221 offset:512                     // 000000003DD4: D9FE0200 0C0000DD
	v_mfma_scale_f32_16x16x128_f8f6f4 a[100:103], v[144:147], v[116:119], a[100:103], v208, v206 op_sel_hi:[0,0,0] cbsz:4 blgp:4// 000000003DDC: D3AC7000 18039DD0 D3AD8C64 8592E990
	buffer_load_dwordx4 v[196:199], v228, s[16:19], 0 offen offset:1024// 000000003DEC: E05C1400 8004C4E4
	v_mfma_scale_f32_16x16x128_f8f6f4 a[104:107], v[148:151], v[112:115], a[104:107], v208, v206 op_sel_hi:[0,0,0] cbsz:4 blgp:4// 000000003DF4: D3AC4800 18039DD0 D3AD8C68 85A2E194
	ds_read_b128 v[20:23], v221 offset:576                     // 000000003E04: D9FE0240 140000DD
	v_mfma_scale_f32_16x16x128_f8f6f4 a[108:111], v[148:151], v[116:119], a[108:111], v208, v206 op_sel_hi:[0,0,0] cbsz:4 blgp:4// 000000003E0C: D3AC7800 18039DD0 D3AD8C6C 85B2E994
	ds_read_b32 v200, v226 offset:2048                         // 000000003E1C: D86C0800 C80000E2
	s_waitcnt lgkmcnt(5)                                       // 000000003E24: BF8CC57F
	v_mfma_scale_f32_16x16x128_f8f6f4 a[112:115], v[136:139], v[120:123], a[112:115], v208, v207 op_sel_hi:[0,0,0] cbsz:4 blgp:4// 000000003E28: D3AC6000 00039FD0 D3AD8C70 85C2F188
	ds_read_b128 v[24:27], v221 offset:4224                    // 000000003E38: D9FE1080 180000DD
	v_mfma_scale_f32_16x16x128_f8f6f4 a[116:119], v[136:139], v[124:127], a[116:119], v208, v207 op_sel_hi:[0,0,0] cbsz:4 blgp:4// 000000003E40: D3AC7000 00039FD0 D3AD8C74 85D2F988
	buffer_load_dword v211, v229, s[24:27], 0 offen            // 000000003E50: E0501000 8006D3E5
	v_mfma_scale_f32_16x16x128_f8f6f4 a[120:123], v[140:143], v[120:123], a[120:123], v208, v207 op_sel_hi:[0,0,0] cbsz:4 blgp:4// 000000003E58: D3AC6800 00039FD0 D3AD8C78 85E2F18C
	s_add_u32 s16, s16, s67                                    // 000000003E68: 80104310
	ds_read_b128 v[32:35], v221 offset:4288                    // 000000003E6C: D9FE10C0 200000DD
	v_mfma_scale_f32_16x16x128_f8f6f4 a[124:127], v[140:143], v[124:127], a[124:127], v208, v207 op_sel_hi:[0,0,0] cbsz:4 blgp:4// 000000003E74: D3AC7800 00039FD0 D3AD8C7C 85F2F98C
	s_addc_u32 s17, 0, s17                                     // 000000003E84: 82111180
	s_sub_u32 s18, s18, s67                                    // 000000003E88: 80924312
	v_mfma_scale_f32_16x16x128_f8f6f4 a[112:115], v[144:147], v[128:131], a[112:115], v208, v207 op_sel_hi:[0,0,0] cbsz:4 blgp:4// 000000003E8C: D3AC6000 18039FD0 D3AD8C70 85C30190
	s_add_u32 s24, s24, s69                                    // 000000003E9C: 80184518
	ds_read_b128 v[28:31], v221 offset:4736                    // 000000003EA0: D9FE1280 1C0000DD
	v_mfma_scale_f32_16x16x128_f8f6f4 a[116:119], v[144:147], v[132:135], a[116:119], v208, v207 op_sel_hi:[0,0,0] cbsz:4 blgp:4// 000000003EA8: D3AC7000 18039FD0 D3AD8C74 85D30990
	s_addc_u32 s25, 0, s25                                     // 000000003EB8: 82191980
	s_sub_u32 s26, s26, s69                                    // 000000003EBC: 809A451A
	v_mfma_scale_f32_16x16x128_f8f6f4 a[120:123], v[148:151], v[128:131], a[120:123], v208, v207 op_sel_hi:[0,0,0] cbsz:4 blgp:4// 000000003EC0: D3AC6800 18039FD0 D3AD8C78 85E30194
	s_addk_i32 s60, 0x100                                      // 000000003ED0: B73C0100
	ds_read_b128 v[36:39], v221 offset:4800                    // 000000003ED4: D9FE12C0 240000DD
	v_mfma_scale_f32_16x16x128_f8f6f4 a[124:127], v[148:151], v[132:135], a[124:127], v208, v207 op_sel_hi:[0,0,0] cbsz:4 blgp:4// 000000003EDC: D3AC7800 18039FD0 D3AD8C7C 85F30994
	s_cmp_lt_i32 s60, s61                                      // 000000003EEC: BF043D3C
	ds_read_b32 v201, v226 offset:2304                         // 000000003EF0: D86C0900 C90000E2
	s_cbranch_scc0 label_1040                                  // 000000003EF8: BF840B81
	s_waitcnt vmcnt(30) lgkmcnt(5)                             // 000000003EFC: BF8C457E
	s_barrier                                                  // 000000003F00: BF8A0000
	v_mfma_scale_f32_16x16x128_f8f6f4 a[0:3], v[152:155], v[8:11], a[0:3], v209, v200 op_sel_hi:[0,0,0] cbsz:4 blgp:4// 000000003F04: D3AC6000 000391D1 D3AD8C00 84021198
	ds_read_b128 v[40:43], v221 offset:8448                    // 000000003F14: D9FE2100 280000DD
	v_mfma_scale_f32_16x16x128_f8f6f4 a[4:7], v[152:155], v[12:15], a[4:7], v209, v200 op_sel_hi:[0,0,0] cbsz:4 blgp:4// 000000003F1C: D3AC7000 000391D1 D3AD8C04 84121998
	s_add_u32 m0, 0, s65                                       // 000000003F2C: 807C4180
	buffer_load_dword v224, s[20:23], 0 offen lds              // 000000003F30: E0511000 800500E0
	v_mfma_scale_f32_16x16x128_f8f6f4 a[8:11], v[156:159], v[8:11], a[8:11], v209, v200 op_sel_hi:[0,0,0] cbsz:4 blgp:4// 000000003F38: D3AC4800 000391D1 D3AD8C08 8422119C
	ds_read_b128 v[48:51], v221 offset:8512                    // 000000003F48: D9FE2140 300000DD
	v_mfma_scale_f32_16x16x128_f8f6f4 a[12:15], v[156:159], v[12:15], a[12:15], v209, v200 op_sel_hi:[0,0,0] cbsz:4 blgp:4// 000000003F50: D3AC7800 000391D1 D3AD8C0C 8432199C
	v_mfma_scale_f32_16x16x128_f8f6f4 a[0:3], v[160:163], v[16:19], a[0:3], v209, v200 op_sel_hi:[0,0,0] cbsz:4 blgp:4// 000000003F60: D3AC6000 180391D1 D3AD8C00 840221A0
	ds_read_b128 v[44:47], v221 offset:8960                    // 000000003F70: D9FE2300 2C0000DD
	v_mfma_scale_f32_16x16x128_f8f6f4 a[4:7], v[160:163], v[20:23], a[4:7], v209, v200 op_sel_hi:[0,0,0] cbsz:4 blgp:4// 000000003F78: D3AC7000 180391D1 D3AD8C04 841229A0
	s_add_u32 m0, 0x400, s65                                   // 000000003F88: 807C41FF 00000400
	buffer_load_dword v225, s[20:23], 0 offen lds              // 000000003F90: E0511000 800500E1
	v_mfma_scale_f32_16x16x128_f8f6f4 a[8:11], v[164:167], v[16:19], a[8:11], v209, v200 op_sel_hi:[0,0,0] cbsz:4 blgp:4// 000000003F98: D3AC6800 180391D1 D3AD8C08 842221A4
	ds_read_b128 v[52:55], v221 offset:9024                    // 000000003FA8: D9FE2340 340000DD
	v_mfma_scale_f32_16x16x128_f8f6f4 a[12:15], v[164:167], v[20:23], a[12:15], v209, v200 op_sel_hi:[0,0,0] cbsz:4 blgp:4// 000000003FB0: D3AC7800 180391D1 D3AD8C0C 843229A4
	ds_read_b32 v202, v226 offset:2560                         // 000000003FC0: D86C0A00 CA0000E2
	s_waitcnt lgkmcnt(5)                                       // 000000003FC8: BF8CC57F
	v_mfma_scale_f32_16x16x128_f8f6f4 a[16:19], v[152:155], v[24:27], a[16:19], v209, v201 op_sel_hi:[0,0,0] cbsz:4 blgp:4// 000000003FCC: D3AC6000 000393D1 D3AD8C10 84423198
	ds_read_b128 v[56:59], v221 offset:12672                   // 000000003FDC: D9FE3180 380000DD
	v_mfma_scale_f32_16x16x128_f8f6f4 a[20:23], v[152:155], v[28:31], a[20:23], v209, v201 op_sel_hi:[0,0,0] cbsz:4 blgp:4// 000000003FE4: D3AC7000 000393D1 D3AD8C14 84523998
	s_add_u32 m0, 0, s64                                       // 000000003FF4: 807C4080
	buffer_load_dwordx4 v212, s[12:15], 0 offen lds            // 000000003FF8: E05D1000 800300D4
	v_mfma_scale_f32_16x16x128_f8f6f4 a[24:27], v[156:159], v[24:27], a[24:27], v209, v201 op_sel_hi:[0,0,0] cbsz:4 blgp:4// 000000004000: D3AC6800 000393D1 D3AD8C18 8462319C
	ds_read_b128 v[64:67], v221 offset:12736                   // 000000004010: D9FE31C0 400000DD
	v_mfma_scale_f32_16x16x128_f8f6f4 a[28:31], v[156:159], v[28:31], a[28:31], v209, v201 op_sel_hi:[0,0,0] cbsz:4 blgp:4// 000000004018: D3AC7800 000393D1 D3AD8C1C 8472399C
	v_mfma_scale_f32_16x16x128_f8f6f4 a[16:19], v[160:163], v[32:35], a[16:19], v209, v201 op_sel_hi:[0,0,0] cbsz:4 blgp:4// 000000004028: D3AC6000 180393D1 D3AD8C10 844241A0
	ds_read_b128 v[60:63], v221 offset:13184                   // 000000004038: D9FE3380 3C0000DD
	v_mfma_scale_f32_16x16x128_f8f6f4 a[20:23], v[160:163], v[36:39], a[20:23], v209, v201 op_sel_hi:[0,0,0] cbsz:4 blgp:4// 000000004040: D3AC3000 180393D1 D3AD8C14 845249A0
	s_add_u32 m0, 0x1080, s64                                  // 000000004050: 807C40FF 00001080
	buffer_load_dwordx4 v213, s[12:15], 0 offen lds            // 000000004058: E05D1000 800300D5
	v_mfma_scale_f32_16x16x128_f8f6f4 a[24:27], v[164:167], v[32:35], a[24:27], v209, v201 op_sel_hi:[0,0,0] cbsz:4 blgp:4// 000000004060: D3AC6800 180393D1 D3AD8C18 846241A4
	ds_read_b128 v[68:71], v221 offset:13248                   // 000000004070: D9FE33C0 440000DD
	v_mfma_scale_f32_16x16x128_f8f6f4 a[28:31], v[164:167], v[36:39], a[28:31], v209, v201 op_sel_hi:[0,0,0] cbsz:4 blgp:4// 000000004078: D3AC7800 180393D1 D3AD8C1C 847249A4
	ds_read_b32 v203, v226 offset:2816                         // 000000004088: D86C0B00 CB0000E2
	s_waitcnt lgkmcnt(5)                                       // 000000004090: BF8CC57F
	v_mfma_scale_f32_16x16x128_f8f6f4 a[32:35], v[152:155], v[40:43], a[32:35], v209, v202 op_sel_hi:[0,0,0] cbsz:4 blgp:4// 000000004094: D3AC6000 000395D1 D3AD8C20 84825198
	ds_read_b128 v[72:75], v221 offset:16896                   // 0000000040A4: D9FE4200 480000DD
	v_mfma_scale_f32_16x16x128_f8f6f4 a[36:39], v[152:155], v[44:47], a[36:39], v209, v202 op_sel_hi:[0,0,0] cbsz:4 blgp:4// 0000000040AC: D3AC7000 000395D1 D3AD8C24 84925998
	s_add_u32 m0, 0x2100, s64                                  // 0000000040BC: 807C40FF 00002100
	buffer_load_dwordx4 v214, s[12:15], 0 offen lds            // 0000000040C4: E05D1000 800300D6
	v_mfma_scale_f32_16x16x128_f8f6f4 a[40:43], v[156:159], v[40:43], a[40:43], v209, v202 op_sel_hi:[0,0,0] cbsz:4 blgp:4// 0000000040CC: D3AC6800 000395D1 D3AD8C28 84A2519C
	ds_read_b128 v[80:83], v221 offset:16960                   // 0000000040DC: D9FE4240 500000DD
	v_mfma_scale_f32_16x16x128_f8f6f4 a[44:47], v[156:159], v[44:47], a[44:47], v209, v202 op_sel_hi:[0,0,0] cbsz:4 blgp:4// 0000000040E4: D3AC7800 000395D1 D3AD8C2C 84B2599C
	v_mfma_scale_f32_16x16x128_f8f6f4 a[32:35], v[160:163], v[48:51], a[32:35], v209, v202 op_sel_hi:[0,0,0] cbsz:4 blgp:4// 0000000040F4: D3AC6000 180395D1 D3AD8C20 848261A0
	ds_read_b128 v[76:79], v221 offset:17408                   // 000000004104: D9FE4400 4C0000DD
	v_mfma_scale_f32_16x16x128_f8f6f4 a[36:39], v[160:163], v[52:55], a[36:39], v209, v202 op_sel_hi:[0,0,0] cbsz:4 blgp:4// 00000000410C: D3AC7000 180395D1 D3AD8C24 849269A0
	s_add_u32 m0, 0x3180, s64                                  // 00000000411C: 807C40FF 00003180
	buffer_load_dwordx4 v215, s[12:15], 0 offen lds            // 000000004124: E05D1000 800300D7
	v_mfma_scale_f32_16x16x128_f8f6f4 a[40:43], v[164:167], v[48:51], a[40:43], v209, v202 op_sel_hi:[0,0,0] cbsz:4 blgp:4// 00000000412C: D3AC6800 180395D1 D3AD8C28 84A261A4
	ds_read_b128 v[84:87], v221 offset:17472                   // 00000000413C: D9FE4440 540000DD
	v_mfma_scale_f32_16x16x128_f8f6f4 a[44:47], v[164:167], v[52:55], a[44:47], v209, v202 op_sel_hi:[0,0,0] cbsz:4 blgp:4// 000000004144: D3AC7800 180395D1 D3AD8C2C 84B269A4
	ds_read_b32 v204, v226 offset:3072                         // 000000004154: D86C0C00 CC0000E2
	s_waitcnt lgkmcnt(5)                                       // 00000000415C: BF8CC57F
	v_mfma_scale_f32_16x16x128_f8f6f4 a[48:51], v[152:155], v[56:59], a[48:51], v209, v203 op_sel_hi:[0,0,0] cbsz:4 blgp:4// 000000004160: D3AC6000 000397D1 D3AD8C30 84C27198
	ds_read_b128 v[88:91], v221 offset:21120                   // 000000004170: D9FE5280 580000DD
	v_mfma_scale_f32_16x16x128_f8f6f4 a[52:55], v[152:155], v[60:63], a[52:55], v209, v203 op_sel_hi:[0,0,0] cbsz:4 blgp:4// 000000004178: D3AC7000 000397D1 D3AD8C34 84D27998
	s_add_u32 m0, 0x4200, s64                                  // 000000004188: 807C40FF 00004200
	buffer_load_dwordx4 v216, s[12:15], 0 offen lds            // 000000004190: E05D1000 800300D8
	v_mfma_scale_f32_16x16x128_f8f6f4 a[56:59], v[156:159], v[56:59], a[56:59], v209, v203 op_sel_hi:[0,0,0] cbsz:4 blgp:4// 000000004198: D3AC6800 000397D1 D3AD8C38 84E2719C
	ds_read_b128 v[96:99], v221 offset:21184                   // 0000000041A8: D9FE52C0 600000DD
	v_mfma_scale_f32_16x16x128_f8f6f4 a[60:63], v[156:159], v[60:63], a[60:63], v209, v203 op_sel_hi:[0,0,0] cbsz:4 blgp:4// 0000000041B0: D3AC7800 000397D1 D3AD8C3C 84F2799C
	v_mfma_scale_f32_16x16x128_f8f6f4 a[48:51], v[160:163], v[64:67], a[48:51], v209, v203 op_sel_hi:[0,0,0] cbsz:4 blgp:4// 0000000041C0: D3AC6000 180397D1 D3AD8C30 84C281A0
	ds_read_b128 v[92:95], v221 offset:21632                   // 0000000041D0: D9FE5480 5C0000DD
	v_mfma_scale_f32_16x16x128_f8f6f4 a[52:55], v[160:163], v[68:71], a[52:55], v209, v203 op_sel_hi:[0,0,0] cbsz:4 blgp:4// 0000000041D8: D3AC7000 180397D1 D3AD8C34 84D289A0
	s_add_u32 m0, 0x5280, s64                                  // 0000000041E8: 807C40FF 00005280
	buffer_load_dwordx4 v217, s[12:15], 0 offen lds            // 0000000041F0: E05D1000 800300D9
	v_mfma_scale_f32_16x16x128_f8f6f4 a[56:59], v[164:167], v[64:67], a[56:59], v209, v203 op_sel_hi:[0,0,0] cbsz:4 blgp:4// 0000000041F8: D3AC6800 180397D1 D3AD8C38 84E281A4
	ds_read_b128 v[100:103], v221 offset:21696                 // 000000004208: D9FE54C0 640000DD
	v_mfma_scale_f32_16x16x128_f8f6f4 a[60:63], v[164:167], v[68:71], a[60:63], v209, v203 op_sel_hi:[0,0,0] cbsz:4 blgp:4// 000000004210: D3AC7800 180397D1 D3AD8C3C 84F289A4
	ds_read_b32 v205, v226 offset:3328                         // 000000004220: D86C0D00 CD0000E2
	s_waitcnt lgkmcnt(5)                                       // 000000004228: BF8CC57F
	v_mfma_scale_f32_16x16x128_f8f6f4 a[64:67], v[152:155], v[72:75], a[64:67], v209, v204 op_sel_hi:[0,0,0] cbsz:4 blgp:4// 00000000422C: D3AC6000 000399D1 D3AD8C40 85029198
	ds_read_b128 v[104:107], v221 offset:25344                 // 00000000423C: D9FE6300 680000DD
	v_mfma_scale_f32_16x16x128_f8f6f4 a[68:71], v[152:155], v[76:79], a[68:71], v209, v204 op_sel_hi:[0,0,0] cbsz:4 blgp:4// 000000004244: D3AC7000 000399D1 D3AD8C44 85129998
	s_add_u32 m0, 0x6300, s64                                  // 000000004254: 807C40FF 00006300
	buffer_load_dwordx4 v218, s[12:15], 0 offen lds            // 00000000425C: E05D1000 800300DA
	v_mfma_scale_f32_16x16x128_f8f6f4 a[72:75], v[156:159], v[72:75], a[72:75], v209, v204 op_sel_hi:[0,0,0] cbsz:4 blgp:4// 000000004264: D3AC6800 000399D1 D3AD8C48 8522919C
	ds_read_b128 v[112:115], v221 offset:25408                 // 000000004274: D9FE6340 700000DD
	v_mfma_scale_f32_16x16x128_f8f6f4 a[76:79], v[156:159], v[76:79], a[76:79], v209, v204 op_sel_hi:[0,0,0] cbsz:4 blgp:4// 00000000427C: D3AC7800 000399D1 D3AD8C4C 8532999C
	v_mfma_scale_f32_16x16x128_f8f6f4 a[64:67], v[160:163], v[80:83], a[64:67], v209, v204 op_sel_hi:[0,0,0] cbsz:4 blgp:4// 00000000428C: D3AC6000 180399D1 D3AD8C40 8502A1A0
	ds_read_b128 v[108:111], v221 offset:25856                 // 00000000429C: D9FE6500 6C0000DD
	v_mfma_scale_f32_16x16x128_f8f6f4 a[68:71], v[160:163], v[84:87], a[68:71], v209, v204 op_sel_hi:[0,0,0] cbsz:4 blgp:4// 0000000042A4: D3AC7000 180399D1 D3AD8C44 8512A9A0
	s_add_u32 m0, 0x7380, s64                                  // 0000000042B4: 807C40FF 00007380
	buffer_load_dwordx4 v219, s[12:15], 0 offen lds            // 0000000042BC: E05D1000 800300DB
	v_mfma_scale_f32_16x16x128_f8f6f4 a[72:75], v[164:167], v[80:83], a[72:75], v209, v204 op_sel_hi:[0,0,0] cbsz:4 blgp:4// 0000000042C4: D3AC6800 180399D1 D3AD8C48 8522A1A4
	s_add_u32 s62, 0x400, s60                                  // 0000000042D4: 803E3CFF 00000400
	ds_read_b128 v[116:119], v221 offset:25920                 // 0000000042DC: D9FE6540 740000DD
	v_mfma_scale_f32_16x16x128_f8f6f4 a[76:79], v[164:167], v[84:87], a[76:79], v209, v204 op_sel_hi:[0,0,0] cbsz:4 blgp:4// 0000000042E4: D3AC7800 180399D1 D3AD8C4C 8532A9A4
	s_cmp_lt_u32 s62, s61                                      // 0000000042F4: BF0A3D3E
	s_cselect_b32 s66, s66, 0                                  // 0000000042F8: 85428042
	ds_read_b32 v206, v226 offset:3584                         // 0000000042FC: D86C0E00 CE0000E2
	s_waitcnt lgkmcnt(5)                                       // 000000004304: BF8CC57F
	v_mfma_scale_f32_16x16x128_f8f6f4 a[80:83], v[152:155], v[88:91], a[80:83], v209, v205 op_sel_hi:[0,0,0] cbsz:4 blgp:4// 000000004308: D3AC6000 00039BD1 D3AD8C50 8542B198
	s_cselect_b32 s68, s68, 0                                  // 000000004318: 85448044
	ds_read_b128 v[120:123], v221 offset:29568                 // 00000000431C: D9FE7380 780000DD
	v_mfma_scale_f32_16x16x128_f8f6f4 a[84:87], v[152:155], v[92:95], a[84:87], v209, v205 op_sel_hi:[0,0,0] cbsz:4 blgp:4// 000000004324: D3AC7000 00039BD1 D3AD8C54 8552B998
	s_add_u32 s12, s12, s66                                    // 000000004334: 800C420C
	buffer_load_dwordx4 v[136:139], v227, s[16:19], 0 offen    // 000000004338: E05C1000 800488E3
	v_mfma_scale_f32_16x16x128_f8f6f4 a[88:91], v[156:159], v[88:91], a[88:91], v209, v205 op_sel_hi:[0,0,0] cbsz:4 blgp:4// 000000004340: D3AC6800 00039BD1 D3AD8C58 8562B19C
	s_addc_u32 s13, 0, s13                                     // 000000004350: 820D0D80
	ds_read_b128 v[128:131], v221 offset:29632                 // 000000004354: D9FE73C0 800000DD
	v_mfma_scale_f32_16x16x128_f8f6f4 a[92:95], v[156:159], v[92:95], a[92:95], v209, v205 op_sel_hi:[0,0,0] cbsz:4 blgp:4// 00000000435C: D3AC7800 00039BD1 D3AD8C5C 8572B99C
	s_sub_u32 s14, s14, s66                                    // 00000000436C: 808E420E
	s_add_u32 s20, s20, s68                                    // 000000004370: 80144414
	v_mfma_scale_f32_16x16x128_f8f6f4 a[80:83], v[160:163], v[96:99], a[80:83], v209, v205 op_sel_hi:[0,0,0] cbsz:4 blgp:4// 000000004374: D3AC6000 18039BD1 D3AD8C50 8542C1A0
	s_addc_u32 s21, 0, s21                                     // 000000004384: 82151580
	ds_read_b128 v[124:127], v221 offset:30080                 // 000000004388: D9FE7580 7C0000DD
	v_mfma_scale_f32_16x16x128_f8f6f4 a[84:87], v[160:163], v[100:103], a[84:87], v209, v205 op_sel_hi:[0,0,0] cbsz:4 blgp:4// 000000004390: D3AC7000 18039BD1 D3AD8C54 8552C9A0
	s_sub_u32 s22, s22, s68                                    // 0000000043A0: 80964416
	buffer_load_dwordx4 v[140:143], v228, s[16:19], 0 offen    // 0000000043A4: E05C1000 80048CE4
	v_mfma_scale_f32_16x16x128_f8f6f4 a[88:91], v[164:167], v[96:99], a[88:91], v209, v205 op_sel_hi:[0,0,0] cbsz:4 blgp:4// 0000000043AC: D3AC6800 18039BD1 D3AD8C58 8562C1A4
	s_add_u32 s63, 0x400, s60                                  // 0000000043BC: 803F3CFF 00000400
	ds_read_b128 v[132:135], v221 offset:30144                 // 0000000043C4: D9FE75C0 840000DD
	v_mfma_scale_f32_16x16x128_f8f6f4 a[92:95], v[164:167], v[100:103], a[92:95], v209, v205 op_sel_hi:[0,0,0] cbsz:4 blgp:4// 0000000043CC: D3AC7800 18039BD1 D3AD8C5C 8572C9A4
	s_cmp_lt_u32 s63, s61                                      // 0000000043DC: BF0A3D3F
	s_cselect_b32 s67, s67, 0                                  // 0000000043E0: 85438043
	ds_read_b32 v207, v226 offset:3840                         // 0000000043E4: D86C0F00 CF0000E2
	s_waitcnt vmcnt(38) lgkmcnt(5)                             // 0000000043EC: BF8C8576
	s_barrier                                                  // 0000000043F0: BF8A0000
	v_mfma_scale_f32_16x16x128_f8f6f4 a[96:99], v[152:155], v[104:107], a[96:99], v209, v206 op_sel_hi:[0,0,0] cbsz:4 blgp:4// 0000000043F4: D3AC6000 00039DD1 D3AD8C60 8582D198
	s_cselect_b32 s69, s69, 0                                  // 000000004404: 85458045
	ds_read_b128 v[8:11], v222                                 // 000000004408: D9FE0000 080000DE
	v_mfma_scale_f32_16x16x128_f8f6f4 a[100:103], v[152:155], v[108:111], a[100:103], v209, v206 op_sel_hi:[0,0,0] cbsz:4 blgp:4// 000000004410: D3AC7000 00039DD1 D3AD8C64 8592D998
	buffer_load_dwordx4 v[144:147], v227, s[16:19], 0 offen offset:1024// 000000004420: E05C1400 800490E3
	v_mfma_scale_f32_16x16x128_f8f6f4 a[104:107], v[156:159], v[104:107], a[104:107], v209, v206 op_sel_hi:[0,0,0] cbsz:4 blgp:4// 000000004428: D3AC6800 00039DD1 D3AD8C68 85A2D19C
	ds_read_b128 v[16:19], v222 offset:64                      // 000000004438: D9FE0040 100000DE
	v_mfma_scale_f32_16x16x128_f8f6f4 a[108:111], v[156:159], v[108:111], a[108:111], v209, v206 op_sel_hi:[0,0,0] cbsz:4 blgp:4// 000000004440: D3AC7800 00039DD1 D3AD8C6C 85B2D99C
	v_mfma_scale_f32_16x16x128_f8f6f4 a[96:99], v[160:163], v[112:115], a[96:99], v209, v206 op_sel_hi:[0,0,0] cbsz:4 blgp:4// 000000004450: D3AC6000 18039DD1 D3AD8C60 8582E1A0
	ds_read_b128 v[12:15], v222 offset:512                     // 000000004460: D9FE0200 0C0000DE
	v_mfma_scale_f32_16x16x128_f8f6f4 a[100:103], v[160:163], v[116:119], a[100:103], v209, v206 op_sel_hi:[0,0,0] cbsz:4 blgp:4// 000000004468: D3AC7000 18039DD1 D3AD8C64 8592E9A0
	buffer_load_dwordx4 v[148:151], v228, s[16:19], 0 offen offset:1024// 000000004478: E05C1400 800494E4
	v_mfma_scale_f32_16x16x128_f8f6f4 a[104:107], v[164:167], v[112:115], a[104:107], v209, v206 op_sel_hi:[0,0,0] cbsz:4 blgp:4// 000000004480: D3AC6800 18039DD1 D3AD8C68 85A2E1A4
	ds_read_b128 v[20:23], v222 offset:576                     // 000000004490: D9FE0240 140000DE
	v_mfma_scale_f32_16x16x128_f8f6f4 a[108:111], v[164:167], v[116:119], a[108:111], v209, v206 op_sel_hi:[0,0,0] cbsz:4 blgp:4// 000000004498: D3AC7800 18039DD1 D3AD8C6C 85B2E9A4
	ds_read_b32 v200, v226 offset:4096                         // 0000000044A8: D86C1000 C80000E2
	s_waitcnt lgkmcnt(5)                                       // 0000000044B0: BF8CC57F
	v_mfma_scale_f32_16x16x128_f8f6f4 a[112:115], v[152:155], v[120:123], a[112:115], v209, v207 op_sel_hi:[0,0,0] cbsz:4 blgp:4// 0000000044B4: D3AC6000 00039FD1 D3AD8C70 85C2F198
	ds_read_b128 v[24:27], v222 offset:4224                    // 0000000044C4: D9FE1080 180000DE
	v_mfma_scale_f32_16x16x128_f8f6f4 a[116:119], v[152:155], v[124:127], a[116:119], v209, v207 op_sel_hi:[0,0,0] cbsz:4 blgp:4// 0000000044CC: D3AC7000 00039FD1 D3AD8C74 85D2F998
	buffer_load_dword v208, v229, s[24:27], 0 offen            // 0000000044DC: E0501000 8006D0E5
	v_mfma_scale_f32_16x16x128_f8f6f4 a[120:123], v[156:159], v[120:123], a[120:123], v209, v207 op_sel_hi:[0,0,0] cbsz:4 blgp:4// 0000000044E4: D3AC6800 00039FD1 D3AD8C78 85E2F19C
	s_add_u32 s16, s16, s67                                    // 0000000044F4: 80104310
	ds_read_b128 v[32:35], v222 offset:4288                    // 0000000044F8: D9FE10C0 200000DE
	v_mfma_scale_f32_16x16x128_f8f6f4 a[124:127], v[156:159], v[124:127], a[124:127], v209, v207 op_sel_hi:[0,0,0] cbsz:4 blgp:4// 000000004500: D3AC7800 00039FD1 D3AD8C7C 85F2F99C
	s_addc_u32 s17, 0, s17                                     // 000000004510: 82111180
	s_sub_u32 s18, s18, s67                                    // 000000004514: 80924312
	v_mfma_scale_f32_16x16x128_f8f6f4 a[112:115], v[160:163], v[128:131], a[112:115], v209, v207 op_sel_hi:[0,0,0] cbsz:4 blgp:4// 000000004518: D3AC6000 18039FD1 D3AD8C70 85C301A0
	s_add_u32 s24, s24, s69                                    // 000000004528: 80184518
	ds_read_b128 v[28:31], v222 offset:4736                    // 00000000452C: D9FE1280 1C0000DE
	v_mfma_scale_f32_16x16x128_f8f6f4 a[116:119], v[160:163], v[132:135], a[116:119], v209, v207 op_sel_hi:[0,0,0] cbsz:4 blgp:4// 000000004534: D3AC7000 18039FD1 D3AD8C74 85D309A0
	s_addc_u32 s25, 0, s25                                     // 000000004544: 82191980
	s_sub_u32 s26, s26, s69                                    // 000000004548: 809A451A
	v_mfma_scale_f32_16x16x128_f8f6f4 a[120:123], v[164:167], v[128:131], a[120:123], v209, v207 op_sel_hi:[0,0,0] cbsz:4 blgp:4// 00000000454C: D3AC6800 18039FD1 D3AD8C78 85E301A4
	s_addk_i32 s60, 0x100                                      // 00000000455C: B73C0100
	ds_read_b128 v[36:39], v222 offset:4800                    // 000000004560: D9FE12C0 240000DE
	v_mfma_scale_f32_16x16x128_f8f6f4 a[124:127], v[164:167], v[132:135], a[124:127], v209, v207 op_sel_hi:[0,0,0] cbsz:4 blgp:4// 000000004568: D3AC7800 18039FD1 D3AD8C7C 85F309A4
	s_cmp_lt_i32 s60, s61                                      // 000000004578: BF043D3C
	ds_read_b32 v201, v226 offset:4352                         // 00000000457C: D86C1100 C90000E2
	s_cbranch_scc0 label_1040                                  // 000000004584: BF8409DE
	s_waitcnt vmcnt(30) lgkmcnt(5)                             // 000000004588: BF8C457E
	s_barrier                                                  // 00000000458C: BF8A0000
	v_mfma_scale_f32_16x16x128_f8f6f4 a[0:3], v[168:171], v[8:11], a[0:3], v210, v200 op_sel_hi:[0,0,0] cbsz:4 blgp:4// 000000004590: D3AC6000 000391D2 D3AD8C00 840211A8
	ds_read_b128 v[40:43], v222 offset:8448                    // 0000000045A0: D9FE2100 280000DE
	v_mfma_scale_f32_16x16x128_f8f6f4 a[4:7], v[168:171], v[12:15], a[4:7], v210, v200 op_sel_hi:[0,0,0] cbsz:4 blgp:4// 0000000045A8: D3AC7000 000391D2 D3AD8C04 841219A8
	s_add_u32 m0, 0x800, s65                                   // 0000000045B8: 807C41FF 00000800
	buffer_load_dword v224, s[20:23], 0 offen lds              // 0000000045C0: E0511000 800500E0
	v_mfma_scale_f32_16x16x128_f8f6f4 a[8:11], v[172:175], v[8:11], a[8:11], v210, v200 op_sel_hi:[0,0,0] cbsz:4 blgp:4// 0000000045C8: D3AC6800 000391D2 D3AD8C08 842211AC
	ds_read_b128 v[48:51], v222 offset:8512                    // 0000000045D8: D9FE2140 300000DE
	v_mfma_scale_f32_16x16x128_f8f6f4 a[12:15], v[172:175], v[12:15], a[12:15], v210, v200 op_sel_hi:[0,0,0] cbsz:4 blgp:4// 0000000045E0: D3AC7800 000391D2 D3AD8C0C 843219AC
	v_mfma_scale_f32_16x16x128_f8f6f4 a[0:3], v[176:179], v[16:19], a[0:3], v210, v200 op_sel_hi:[0,0,0] cbsz:4 blgp:4// 0000000045F0: D3AC6000 180391D2 D3AD8C00 840221B0
	ds_read_b128 v[44:47], v222 offset:8960                    // 000000004600: D9FE2300 2C0000DE
	v_mfma_scale_f32_16x16x128_f8f6f4 a[4:7], v[176:179], v[20:23], a[4:7], v210, v200 op_sel_hi:[0,0,0] cbsz:4 blgp:4// 000000004608: D3AC7000 180391D2 D3AD8C04 841229B0
	s_add_u32 m0, 0xc00, s65                                   // 000000004618: 807C41FF 00000C00
	buffer_load_dword v225, s[20:23], 0 offen lds              // 000000004620: E0511000 800500E1
	v_mfma_scale_f32_16x16x128_f8f6f4 a[8:11], v[180:183], v[16:19], a[8:11], v210, v200 op_sel_hi:[0,0,0] cbsz:4 blgp:4// 000000004628: D3AC6800 180391D2 D3AD8C08 842221B4
	ds_read_b128 v[52:55], v222 offset:9024                    // 000000004638: D9FE2340 340000DE
	v_mfma_scale_f32_16x16x128_f8f6f4 a[12:15], v[180:183], v[20:23], a[12:15], v210, v200 op_sel_hi:[0,0,0] cbsz:4 blgp:4// 000000004640: D3AC7800 180391D2 D3AD8C0C 843229B4
	ds_read_b32 v202, v226 offset:4608                         // 000000004650: D86C1200 CA0000E2
	s_waitcnt lgkmcnt(5)                                       // 000000004658: BF8CC57F
	v_mfma_scale_f32_16x16x128_f8f6f4 a[16:19], v[168:171], v[24:27], a[16:19], v210, v201 op_sel_hi:[0,0,0] cbsz:4 blgp:4// 00000000465C: D3AC6000 000393D2 D3AD8C10 844231A8
	ds_read_b128 v[56:59], v222 offset:12672                   // 00000000466C: D9FE3180 380000DE
	v_mfma_scale_f32_16x16x128_f8f6f4 a[20:23], v[168:171], v[28:31], a[20:23], v210, v201 op_sel_hi:[0,0,0] cbsz:4 blgp:4// 000000004674: D3AC7000 000393D2 D3AD8C14 845239A8
	s_add_u32 m0, 0x8400, s64                                  // 000000004684: 807C40FF 00008400
	buffer_load_dwordx4 v212, s[12:15], 0 offen lds            // 00000000468C: E05D1000 800300D4
	v_mfma_scale_f32_16x16x128_f8f6f4 a[24:27], v[172:175], v[24:27], a[24:27], v210, v201 op_sel_hi:[0,0,0] cbsz:4 blgp:4// 000000004694: D3AC6800 000393D2 D3AD8C18 846231AC
	ds_read_b128 v[64:67], v222 offset:12736                   // 0000000046A4: D9FE31C0 400000DE
	v_mfma_scale_f32_16x16x128_f8f6f4 a[28:31], v[172:175], v[28:31], a[28:31], v210, v201 op_sel_hi:[0,0,0] cbsz:4 blgp:4// 0000000046AC: D3AC7800 000393D2 D3AD8C1C 847239AC
	v_mfma_scale_f32_16x16x128_f8f6f4 a[16:19], v[176:179], v[32:35], a[16:19], v210, v201 op_sel_hi:[0,0,0] cbsz:4 blgp:4// 0000000046BC: D3AC6000 180393D2 D3AD8C10 844241B0
	ds_read_b128 v[60:63], v222 offset:13184                   // 0000000046CC: D9FE3380 3C0000DE
	v_mfma_scale_f32_16x16x128_f8f6f4 a[20:23], v[176:179], v[36:39], a[20:23], v210, v201 op_sel_hi:[0,0,0] cbsz:4 blgp:4// 0000000046D4: D3AC7000 180393D2 D3AD8C14 845249B0
	s_add_u32 m0, 0x9480, s64                                  // 0000000046E4: 807C40FF 00009480
	buffer_load_dwordx4 v213, s[12:15], 0 offen lds            // 0000000046EC: E05D1000 800300D5
	v_mfma_scale_f32_16x16x128_f8f6f4 a[24:27], v[180:183], v[32:35], a[24:27], v210, v201 op_sel_hi:[0,0,0] cbsz:4 blgp:4// 0000000046F4: D3AC6800 180393D2 D3AD8C18 846241B4
	ds_read_b128 v[68:71], v222 offset:13248                   // 000000004704: D9FE33C0 440000DE
	v_mfma_scale_f32_16x16x128_f8f6f4 a[28:31], v[180:183], v[36:39], a[28:31], v210, v201 op_sel_hi:[0,0,0] cbsz:4 blgp:4// 00000000470C: D3AC7800 180393D2 D3AD8C1C 847249B4
	ds_read_b32 v203, v226 offset:4864                         // 00000000471C: D86C1300 CB0000E2
	s_waitcnt lgkmcnt(5)                                       // 000000004724: BF8CC57F
	v_mfma_scale_f32_16x16x128_f8f6f4 a[32:35], v[168:171], v[40:43], a[32:35], v210, v202 op_sel_hi:[0,0,0] cbsz:4 blgp:4// 000000004728: D3AC6000 000395D2 D3AD8C20 848251A8
	ds_read_b128 v[72:75], v222 offset:16896                   // 000000004738: D9FE4200 480000DE
	v_mfma_scale_f32_16x16x128_f8f6f4 a[36:39], v[168:171], v[44:47], a[36:39], v210, v202 op_sel_hi:[0,0,0] cbsz:4 blgp:4// 000000004740: D3AC7000 000395D2 D3AD8C24 849259A8
	s_add_u32 m0, 0xa500, s64                                  // 000000004750: 807C40FF 0000A500
	buffer_load_dwordx4 v214, s[12:15], 0 offen lds            // 000000004758: E05D1000 800300D6
	v_mfma_scale_f32_16x16x128_f8f6f4 a[40:43], v[172:175], v[40:43], a[40:43], v210, v202 op_sel_hi:[0,0,0] cbsz:4 blgp:4// 000000004760: D3AC6800 000395D2 D3AD8C28 84A251AC
	ds_read_b128 v[80:83], v222 offset:16960                   // 000000004770: D9FE4240 500000DE
	v_mfma_scale_f32_16x16x128_f8f6f4 a[44:47], v[172:175], v[44:47], a[44:47], v210, v202 op_sel_hi:[0,0,0] cbsz:4 blgp:4// 000000004778: D3AC7800 000395D2 D3AD8C2C 84B259AC
	v_mfma_scale_f32_16x16x128_f8f6f4 a[32:35], v[176:179], v[48:51], a[32:35], v210, v202 op_sel_hi:[0,0,0] cbsz:4 blgp:4// 000000004788: D3AC0000 180395D2 D3AD8C20 848261B0
	ds_read_b128 v[76:79], v222 offset:17408                   // 000000004798: D9FE4400 4C0000DE
	v_mfma_scale_f32_16x16x128_f8f6f4 a[36:39], v[176:179], v[52:55], a[36:39], v210, v202 op_sel_hi:[0,0,0] cbsz:4 blgp:4// 0000000047A0: D3AC1000 180395D2 D3AD8C24 849269B0
	s_add_u32 m0, 0xb580, s64                                  // 0000000047B0: 807C40FF 0000B580
	buffer_load_dwordx4 v215, s[12:15], 0 offen lds            // 0000000047B8: E05D1000 800300D7
	v_mfma_scale_f32_16x16x128_f8f6f4 a[40:43], v[180:183], v[48:51], a[40:43], v210, v202 op_sel_hi:[0,0,0] cbsz:4 blgp:4// 0000000047C0: D3AC6800 180395D2 D3AD8C28 84A261B4
	ds_read_b128 v[84:87], v222 offset:17472                   // 0000000047D0: D9FE4440 540000DE
	v_mfma_scale_f32_16x16x128_f8f6f4 a[44:47], v[180:183], v[52:55], a[44:47], v210, v202 op_sel_hi:[0,0,0] cbsz:4 blgp:4// 0000000047D8: D3AC7800 180395D2 D3AD8C2C 84B269B4
	ds_read_b32 v204, v226 offset:5120                         // 0000000047E8: D86C1400 CC0000E2
	s_waitcnt lgkmcnt(5)                                       // 0000000047F0: BF8CC57F
	v_mfma_scale_f32_16x16x128_f8f6f4 a[48:51], v[168:171], v[56:59], a[48:51], v210, v203 op_sel_hi:[0,0,0] cbsz:4 blgp:4// 0000000047F4: D3AC6000 000397D2 D3AD8C30 84C271A8
	ds_read_b128 v[88:91], v222 offset:21120                   // 000000004804: D9FE5280 580000DE
	v_mfma_scale_f32_16x16x128_f8f6f4 a[52:55], v[168:171], v[60:63], a[52:55], v210, v203 op_sel_hi:[0,0,0] cbsz:4 blgp:4// 00000000480C: D3AC7000 000397D2 D3AD8C34 84D279A8
	s_add_u32 m0, 0xc600, s64                                  // 00000000481C: 807C40FF 0000C600
	buffer_load_dwordx4 v216, s[12:15], 0 offen lds            // 000000004824: E05D1000 800300D8
	v_mfma_scale_f32_16x16x128_f8f6f4 a[56:59], v[172:175], v[56:59], a[56:59], v210, v203 op_sel_hi:[0,0,0] cbsz:4 blgp:4// 00000000482C: D3AC6800 000397D2 D3AD8C38 84E271AC
	ds_read_b128 v[96:99], v222 offset:21184                   // 00000000483C: D9FE52C0 600000DE
	v_mfma_scale_f32_16x16x128_f8f6f4 a[60:63], v[172:175], v[60:63], a[60:63], v210, v203 op_sel_hi:[0,0,0] cbsz:4 blgp:4// 000000004844: D3AC7800 000397D2 D3AD8C3C 84F279AC
	v_mfma_scale_f32_16x16x128_f8f6f4 a[48:51], v[176:179], v[64:67], a[48:51], v210, v203 op_sel_hi:[0,0,0] cbsz:4 blgp:4// 000000004854: D3AC6000 180397D2 D3AD8C30 84C281B0
	ds_read_b128 v[92:95], v222 offset:21632                   // 000000004864: D9FE5480 5C0000DE
	v_mfma_scale_f32_16x16x128_f8f6f4 a[52:55], v[176:179], v[68:71], a[52:55], v210, v203 op_sel_hi:[0,0,0] cbsz:4 blgp:4// 00000000486C: D3AC7000 180397D2 D3AD8C34 84D289B0
	s_add_u32 m0, 0xd680, s64                                  // 00000000487C: 807C40FF 0000D680
	buffer_load_dwordx4 v217, s[12:15], 0 offen lds            // 000000004884: E05D1000 800300D9
	v_mfma_scale_f32_16x16x128_f8f6f4 a[56:59], v[180:183], v[64:67], a[56:59], v210, v203 op_sel_hi:[0,0,0] cbsz:4 blgp:4// 00000000488C: D3AC6800 180397D2 D3AD8C38 84E281B4
	ds_read_b128 v[100:103], v222 offset:21696                 // 00000000489C: D9FE54C0 640000DE
	v_mfma_scale_f32_16x16x128_f8f6f4 a[60:63], v[180:183], v[68:71], a[60:63], v210, v203 op_sel_hi:[0,0,0] cbsz:4 blgp:4// 0000000048A4: D3AC7800 180397D2 D3AD8C3C 84F289B4
	ds_read_b32 v205, v226 offset:5376                         // 0000000048B4: D86C1500 CD0000E2
	s_waitcnt lgkmcnt(5)                                       // 0000000048BC: BF8CC57F
	v_mfma_scale_f32_16x16x128_f8f6f4 a[64:67], v[168:171], v[72:75], a[64:67], v210, v204 op_sel_hi:[0,0,0] cbsz:4 blgp:4// 0000000048C0: D3AC6000 000399D2 D3AD8C40 850291A8
	ds_read_b128 v[104:107], v222 offset:25344                 // 0000000048D0: D9FE6300 680000DE
	v_mfma_scale_f32_16x16x128_f8f6f4 a[68:71], v[168:171], v[76:79], a[68:71], v210, v204 op_sel_hi:[0,0,0] cbsz:4 blgp:4// 0000000048D8: D3AC7000 000399D2 D3AD8C44 851299A8
	s_add_u32 m0, 0xe700, s64                                  // 0000000048E8: 807C40FF 0000E700
	buffer_load_dwordx4 v218, s[12:15], 0 offen lds            // 0000000048F0: E05D1000 800300DA
	v_mfma_scale_f32_16x16x128_f8f6f4 a[72:75], v[172:175], v[72:75], a[72:75], v210, v204 op_sel_hi:[0,0,0] cbsz:4 blgp:4// 0000000048F8: D3AC6800 000399D2 D3AD8C48 852291AC
	ds_read_b128 v[112:115], v222 offset:25408                 // 000000004908: D9FE6340 700000DE
	v_mfma_scale_f32_16x16x128_f8f6f4 a[76:79], v[172:175], v[76:79], a[76:79], v210, v204 op_sel_hi:[0,0,0] cbsz:4 blgp:4// 000000004910: D3AC7800 000399D2 D3AD8C4C 853299AC
	v_mfma_scale_f32_16x16x128_f8f6f4 a[64:67], v[176:179], v[80:83], a[64:67], v210, v204 op_sel_hi:[0,0,0] cbsz:4 blgp:4// 000000004920: D3AC6000 180399D2 D3AD8C40 8502A1B0
	ds_read_b128 v[108:111], v222 offset:25856                 // 000000004930: D9FE6500 6C0000DE
	v_mfma_scale_f32_16x16x128_f8f6f4 a[68:71], v[176:179], v[84:87], a[68:71], v210, v204 op_sel_hi:[0,0,0] cbsz:4 blgp:4// 000000004938: D3AC7000 180399D2 D3AD8C44 8512A9B0
	s_add_u32 m0, 0xf780, s64                                  // 000000004948: 807C40FF 0000F780
	buffer_load_dwordx4 v219, s[12:15], 0 offen lds            // 000000004950: E05D1000 800300DB
	v_mfma_scale_f32_16x16x128_f8f6f4 a[72:75], v[180:183], v[80:83], a[72:75], v210, v204 op_sel_hi:[0,0,0] cbsz:4 blgp:4// 000000004958: D3AC6800 180399D2 D3AD8C48 8522A1B4
	s_add_u32 s62, 0x400, s60                                  // 000000004968: 803E3CFF 00000400
	ds_read_b128 v[116:119], v222 offset:25920                 // 000000004970: D9FE6540 740000DE
	v_mfma_scale_f32_16x16x128_f8f6f4 a[76:79], v[180:183], v[84:87], a[76:79], v210, v204 op_sel_hi:[0,0,0] cbsz:4 blgp:4// 000000004978: D3AC7800 180399D2 D3AD8C4C 8532A9B4
	s_cmp_lt_u32 s62, s61                                      // 000000004988: BF0A3D3E
	s_cselect_b32 s66, s66, 0                                  // 00000000498C: 85428042
	ds_read_b32 v206, v226 offset:5632                         // 000000004990: D86C1600 CE0000E2
	s_waitcnt lgkmcnt(5)                                       // 000000004998: BF8CC57F
	v_mfma_scale_f32_16x16x128_f8f6f4 a[80:83], v[168:171], v[88:91], a[80:83], v210, v205 op_sel_hi:[0,0,0] cbsz:4 blgp:4// 00000000499C: D3AC6000 00039BD2 D3AD8C50 8542B1A8
	s_cselect_b32 s68, s68, 0                                  // 0000000049AC: 85448044
	ds_read_b128 v[120:123], v222 offset:29568                 // 0000000049B0: D9FE7380 780000DE
	v_mfma_scale_f32_16x16x128_f8f6f4 a[84:87], v[168:171], v[92:95], a[84:87], v210, v205 op_sel_hi:[0,0,0] cbsz:4 blgp:4// 0000000049B8: D3AC7000 00039BD2 D3AD8C54 8552B9A8
	s_add_u32 s12, s12, s66                                    // 0000000049C8: 800C420C
	buffer_load_dwordx4 v[152:155], v227, s[16:19], 0 offen    // 0000000049CC: E05C1000 800498E3
	v_mfma_scale_f32_16x16x128_f8f6f4 a[88:91], v[172:175], v[88:91], a[88:91], v210, v205 op_sel_hi:[0,0,0] cbsz:4 blgp:4// 0000000049D4: D3AC6800 00039BD2 D3AD8C58 8562B1AC
	s_addc_u32 s13, 0, s13                                     // 0000000049E4: 820D0D80
	ds_read_b128 v[128:131], v222 offset:29632                 // 0000000049E8: D9FE73C0 800000DE
	v_mfma_scale_f32_16x16x128_f8f6f4 a[92:95], v[172:175], v[92:95], a[92:95], v210, v205 op_sel_hi:[0,0,0] cbsz:4 blgp:4// 0000000049F0: D3AC7800 00039BD2 D3AD8C5C 8572B9AC
	s_sub_u32 s14, s14, s66                                    // 000000004A00: 808E420E
	s_add_u32 s20, s20, s68                                    // 000000004A04: 80144414
	v_mfma_scale_f32_16x16x128_f8f6f4 a[80:83], v[176:179], v[96:99], a[80:83], v210, v205 op_sel_hi:[0,0,0] cbsz:4 blgp:4// 000000004A08: D3AC6000 18039BD2 D3AD8C50 8542C1B0
	s_addc_u32 s21, 0, s21                                     // 000000004A18: 82151580
	ds_read_b128 v[124:127], v222 offset:30080                 // 000000004A1C: D9FE7580 7C0000DE
	v_mfma_scale_f32_16x16x128_f8f6f4 a[84:87], v[176:179], v[100:103], a[84:87], v210, v205 op_sel_hi:[0,0,0] cbsz:4 blgp:4// 000000004A24: D3AC7000 18039BD2 D3AD8C54 8552C9B0
	s_sub_u32 s22, s22, s68                                    // 000000004A34: 80964416
	buffer_load_dwordx4 v[156:159], v228, s[16:19], 0 offen    // 000000004A38: E05C1000 80049CE4
	v_mfma_scale_f32_16x16x128_f8f6f4 a[88:91], v[180:183], v[96:99], a[88:91], v210, v205 op_sel_hi:[0,0,0] cbsz:4 blgp:4// 000000004A40: D3AC6800 18039BD2 D3AD8C58 8562C1B4
	s_add_u32 s63, 0x400, s60                                  // 000000004A50: 803F3CFF 00000400
	ds_read_b128 v[132:135], v222 offset:30144                 // 000000004A58: D9FE75C0 840000DE
	v_mfma_scale_f32_16x16x128_f8f6f4 a[92:95], v[180:183], v[100:103], a[92:95], v210, v205 op_sel_hi:[0,0,0] cbsz:4 blgp:4// 000000004A60: D3AC7800 18039BD2 D3AD8C5C 8572C9B4
	s_cmp_lt_u32 s63, s61                                      // 000000004A70: BF0A3D3F
	s_cselect_b32 s67, s67, 0                                  // 000000004A74: 85438043
	ds_read_b32 v207, v226 offset:5888                         // 000000004A78: D86C1700 CF0000E2
	s_waitcnt vmcnt(38) lgkmcnt(5)                             // 000000004A80: BF8C8576
	s_barrier                                                  // 000000004A84: BF8A0000
	v_mfma_scale_f32_16x16x128_f8f6f4 a[96:99], v[168:171], v[104:107], a[96:99], v210, v206 op_sel_hi:[0,0,0] cbsz:4 blgp:4// 000000004A88: D3AC6000 00039DD2 D3AD8C60 8582D1A8
	s_cselect_b32 s69, s69, 0                                  // 000000004A98: 85458045
	ds_read_b128 v[8:11], v223                                 // 000000004A9C: D9FE0000 080000DF
	v_mfma_scale_f32_16x16x128_f8f6f4 a[100:103], v[168:171], v[108:111], a[100:103], v210, v206 op_sel_hi:[0,0,0] cbsz:4 blgp:4// 000000004AA4: D3AC7000 00039DD2 D3AD8C64 8592D9A8
	buffer_load_dwordx4 v[160:163], v227, s[16:19], 0 offen offset:1024// 000000004AB4: E05C1400 8004A0E3
	v_mfma_scale_f32_16x16x128_f8f6f4 a[104:107], v[172:175], v[104:107], a[104:107], v210, v206 op_sel_hi:[0,0,0] cbsz:4 blgp:4// 000000004ABC: D3AC6800 00039DD2 D3AD8C68 85A2D1AC
	ds_read_b128 v[16:19], v223 offset:64                      // 000000004ACC: D9FE0040 100000DF
	v_mfma_scale_f32_16x16x128_f8f6f4 a[108:111], v[172:175], v[108:111], a[108:111], v210, v206 op_sel_hi:[0,0,0] cbsz:4 blgp:4// 000000004AD4: D3AC7800 00039DD2 D3AD8C6C 85B2D9AC
	v_mfma_scale_f32_16x16x128_f8f6f4 a[96:99], v[176:179], v[112:115], a[96:99], v210, v206 op_sel_hi:[0,0,0] cbsz:4 blgp:4// 000000004AE4: D3AC6000 18039DD2 D3AD8C60 8582E1B0
	ds_read_b128 v[12:15], v223 offset:512                     // 000000004AF4: D9FE0200 0C0000DF
	v_mfma_scale_f32_16x16x128_f8f6f4 a[100:103], v[176:179], v[116:119], a[100:103], v210, v206 op_sel_hi:[0,0,0] cbsz:4 blgp:4// 000000004AFC: D3AC7000 18039DD2 D3AD8C64 8592E9B0
	buffer_load_dwordx4 v[164:167], v228, s[16:19], 0 offen offset:1024// 000000004B0C: E05C1400 8004A4E4
	v_mfma_scale_f32_16x16x128_f8f6f4 a[104:107], v[180:183], v[112:115], a[104:107], v210, v206 op_sel_hi:[0,0,0] cbsz:4 blgp:4// 000000004B14: D3AC6800 18039DD2 D3AD8C68 85A2E1B4
	ds_read_b128 v[20:23], v223 offset:576                     // 000000004B24: D9FE0240 140000DF
	v_mfma_scale_f32_16x16x128_f8f6f4 a[108:111], v[180:183], v[116:119], a[108:111], v210, v206 op_sel_hi:[0,0,0] cbsz:4 blgp:4// 000000004B2C: D3AC7800 18039DD2 D3AD8C6C 85B2E9B4
	ds_read_b32 v200, v226 offset:6144                         // 000000004B3C: D86C1800 C80000E2
	s_waitcnt lgkmcnt(5)                                       // 000000004B44: BF8CC57F
	v_mfma_scale_f32_16x16x128_f8f6f4 a[112:115], v[168:171], v[120:123], a[112:115], v210, v207 op_sel_hi:[0,0,0] cbsz:4 blgp:4// 000000004B48: D3AC6000 00039FD2 D3AD8C70 85C2F1A8
	ds_read_b128 v[24:27], v223 offset:4224                    // 000000004B58: D9FE1080 180000DF
	v_mfma_scale_f32_16x16x128_f8f6f4 a[116:119], v[168:171], v[124:127], a[116:119], v210, v207 op_sel_hi:[0,0,0] cbsz:4 blgp:4// 000000004B60: D3AC7000 00039FD2 D3AD8C74 85D2F9A8
	buffer_load_dword v209, v229, s[24:27], 0 offen            // 000000004B70: E0501000 8006D1E5
	v_mfma_scale_f32_16x16x128_f8f6f4 a[120:123], v[172:175], v[120:123], a[120:123], v210, v207 op_sel_hi:[0,0,0] cbsz:4 blgp:4// 000000004B78: D3AC6800 00039FD2 D3AD8C78 85E2F1AC
	s_add_u32 s16, s16, s67                                    // 000000004B88: 80104310
	ds_read_b128 v[32:35], v223 offset:4288                    // 000000004B8C: D9FE10C0 200000DF
	v_mfma_scale_f32_16x16x128_f8f6f4 a[124:127], v[172:175], v[124:127], a[124:127], v210, v207 op_sel_hi:[0,0,0] cbsz:4 blgp:4// 000000004B94: D3AC7800 00039FD2 D3AD8C7C 85F2F9AC
	s_addc_u32 s17, 0, s17                                     // 000000004BA4: 82111180
	s_sub_u32 s18, s18, s67                                    // 000000004BA8: 80924312
	v_mfma_scale_f32_16x16x128_f8f6f4 a[112:115], v[176:179], v[128:131], a[112:115], v210, v207 op_sel_hi:[0,0,0] cbsz:4 blgp:4// 000000004BAC: D3AC6000 18039FD2 D3AD8C70 85C301B0
	s_add_u32 s24, s24, s69                                    // 000000004BBC: 80184518
	ds_read_b128 v[28:31], v223 offset:4736                    // 000000004BC0: D9FE1280 1C0000DF
	v_mfma_scale_f32_16x16x128_f8f6f4 a[116:119], v[176:179], v[132:135], a[116:119], v210, v207 op_sel_hi:[0,0,0] cbsz:4 blgp:4// 000000004BC8: D3AC7000 18039FD2 D3AD8C74 85D309B0
	s_addc_u32 s25, 0, s25                                     // 000000004BD8: 82191980
	s_sub_u32 s26, s26, s69                                    // 000000004BDC: 809A451A
	v_mfma_scale_f32_16x16x128_f8f6f4 a[120:123], v[180:183], v[128:131], a[120:123], v210, v207 op_sel_hi:[0,0,0] cbsz:4 blgp:4// 000000004BE0: D3AC6800 18039FD2 D3AD8C78 85E301B4
	s_addk_i32 s60, 0x100                                      // 000000004BF0: B73C0100
	ds_read_b128 v[36:39], v223 offset:4800                    // 000000004BF4: D9FE12C0 240000DF
	v_mfma_scale_f32_16x16x128_f8f6f4 a[124:127], v[180:183], v[132:135], a[124:127], v210, v207 op_sel_hi:[0,0,0] cbsz:4 blgp:4// 000000004BFC: D3AC7800 18039FD2 D3AD8C7C 85F309B4
	s_cmp_lt_i32 s60, s61                                      // 000000004C0C: BF043D3C
	ds_read_b32 v201, v226 offset:6400                         // 000000004C10: D86C1900 C90000E2
	s_cbranch_scc0 label_1040                                  // 000000004C18: BF840839
	s_waitcnt vmcnt(30) lgkmcnt(5)                             // 000000004C1C: BF8C457E
	s_barrier                                                  // 000000004C20: BF8A0000
	v_mfma_scale_f32_16x16x128_f8f6f4 a[0:3], v[184:187], v[8:11], a[0:3], v211, v200 op_sel_hi:[0,0,0] cbsz:4 blgp:4// 000000004C24: D3AC6000 000391D3 D3AD8C00 840211B8
	ds_read_b128 v[40:43], v223 offset:8448                    // 000000004C34: D9FE2100 280000DF
	v_mfma_scale_f32_16x16x128_f8f6f4 a[4:7], v[184:187], v[12:15], a[4:7], v211, v200 op_sel_hi:[0,0,0] cbsz:4 blgp:4// 000000004C3C: D3AC7000 000391D3 D3AD8C04 841219B8
	s_add_u32 m0, 0x1000, s65                                  // 000000004C4C: 807C41FF 00001000
	buffer_load_dword v224, s[20:23], 0 offen lds              // 000000004C54: E0511000 800500E0
	v_mfma_scale_f32_16x16x128_f8f6f4 a[8:11], v[188:191], v[8:11], a[8:11], v211, v200 op_sel_hi:[0,0,0] cbsz:4 blgp:4// 000000004C5C: D3AC6800 000391D3 D3AD8C08 842211BC
	ds_read_b128 v[48:51], v223 offset:8512                    // 000000004C6C: D9FE2140 300000DF
	v_mfma_scale_f32_16x16x128_f8f6f4 a[12:15], v[188:191], v[12:15], a[12:15], v211, v200 op_sel_hi:[0,0,0] cbsz:4 blgp:4// 000000004C74: D3AC7800 000391D3 D3AD8C0C 843219BC
	v_mfma_scale_f32_16x16x128_f8f6f4 a[0:3], v[192:195], v[16:19], a[0:3], v211, v200 op_sel_hi:[0,0,0] cbsz:4 blgp:4// 000000004C84: D3AC6000 180391D3 D3AD8C00 840221C0
	ds_read_b128 v[44:47], v223 offset:8960                    // 000000004C94: D9FE2300 2C0000DF
	v_mfma_scale_f32_16x16x128_f8f6f4 a[4:7], v[192:195], v[20:23], a[4:7], v211, v200 op_sel_hi:[0,0,0] cbsz:4 blgp:4// 000000004C9C: D3AC7000 180391D3 D3AD8C04 841229C0
	s_add_u32 m0, 0x1400, s65                                  // 000000004CAC: 807C41FF 00001400
	buffer_load_dword v225, s[20:23], 0 offen lds              // 000000004CB4: E0511000 800500E1
	v_mfma_scale_f32_16x16x128_f8f6f4 a[8:11], v[196:199], v[16:19], a[8:11], v211, v200 op_sel_hi:[0,0,0] cbsz:4 blgp:4// 000000004CBC: D3AC6800 180391D3 D3AD8C08 842221C4
	ds_read_b128 v[52:55], v223 offset:9024                    // 000000004CCC: D9FE2340 340000DF
	v_mfma_scale_f32_16x16x128_f8f6f4 a[12:15], v[196:199], v[20:23], a[12:15], v211, v200 op_sel_hi:[0,0,0] cbsz:4 blgp:4// 000000004CD4: D3AC7800 180391D3 D3AD8C0C 843229C4
	ds_read_b32 v202, v226 offset:6656                         // 000000004CE4: D86C1A00 CA0000E2
	s_waitcnt lgkmcnt(5)                                       // 000000004CEC: BF8CC57F
	v_mfma_scale_f32_16x16x128_f8f6f4 a[16:19], v[184:187], v[24:27], a[16:19], v211, v201 op_sel_hi:[0,0,0] cbsz:4 blgp:4// 000000004CF0: D3AC6000 000393D3 D3AD8C10 844231B8
	ds_read_b128 v[56:59], v223 offset:12672                   // 000000004D00: D9FE3180 380000DF
	v_mfma_scale_f32_16x16x128_f8f6f4 a[20:23], v[184:187], v[28:31], a[20:23], v211, v201 op_sel_hi:[0,0,0] cbsz:4 blgp:4// 000000004D08: D3AC7000 000393D3 D3AD8C14 845239B8
	s_add_u32 m0, 0x10800, s64                                 // 000000004D18: 807C40FF 00010800
	buffer_load_dwordx4 v212, s[12:15], 0 offen lds            // 000000004D20: E05D1000 800300D4
	v_mfma_scale_f32_16x16x128_f8f6f4 a[24:27], v[188:191], v[24:27], a[24:27], v211, v201 op_sel_hi:[0,0,0] cbsz:4 blgp:4// 000000004D28: D3AC6800 000393D3 D3AD8C18 846231BC
	ds_read_b128 v[64:67], v223 offset:12736                   // 000000004D38: D9FE31C0 400000DF
	v_mfma_scale_f32_16x16x128_f8f6f4 a[28:31], v[188:191], v[28:31], a[28:31], v211, v201 op_sel_hi:[0,0,0] cbsz:4 blgp:4// 000000004D40: D3AC7800 000393D3 D3AD8C1C 847239BC
	v_mfma_scale_f32_16x16x128_f8f6f4 a[16:19], v[192:195], v[32:35], a[16:19], v211, v201 op_sel_hi:[0,0,0] cbsz:4 blgp:4// 000000004D50: D3AC6000 180393D3 D3AD8C10 844241C0
	ds_read_b128 v[60:63], v223 offset:13184                   // 000000004D60: D9FE3380 3C0000DF
	v_mfma_scale_f32_16x16x128_f8f6f4 a[20:23], v[192:195], v[36:39], a[20:23], v211, v201 op_sel_hi:[0,0,0] cbsz:4 blgp:4// 000000004D68: D3AC1000 180393D3 D3AD8C14 845249C0
	s_add_u32 m0, 0x11880, s64                                 // 000000004D78: 807C40FF 00011880
	buffer_load_dwordx4 v213, s[12:15], 0 offen lds            // 000000004D80: E05D1000 800300D5
	v_mfma_scale_f32_16x16x128_f8f6f4 a[24:27], v[196:199], v[32:35], a[24:27], v211, v201 op_sel_hi:[0,0,0] cbsz:4 blgp:4// 000000004D88: D3AC0800 180393D3 D3AD8C18 846241C4
	ds_read_b128 v[68:71], v223 offset:13248                   // 000000004D98: D9FE33C0 440000DF
	v_mfma_scale_f32_16x16x128_f8f6f4 a[28:31], v[196:199], v[36:39], a[28:31], v211, v201 op_sel_hi:[0,0,0] cbsz:4 blgp:4// 000000004DA0: D3AC7800 180393D3 D3AD8C1C 847249C4
	ds_read_b32 v203, v226 offset:6912                         // 000000004DB0: D86C1B00 CB0000E2
	s_waitcnt lgkmcnt(5)                                       // 000000004DB8: BF8CC57F
	v_mfma_scale_f32_16x16x128_f8f6f4 a[32:35], v[184:187], v[40:43], a[32:35], v211, v202 op_sel_hi:[0,0,0] cbsz:4 blgp:4// 000000004DBC: D3AC6000 000395D3 D3AD8C20 848251B8
	ds_read_b128 v[72:75], v223 offset:16896                   // 000000004DCC: D9FE4200 480000DF
	v_mfma_scale_f32_16x16x128_f8f6f4 a[36:39], v[184:187], v[44:47], a[36:39], v211, v202 op_sel_hi:[0,0,0] cbsz:4 blgp:4// 000000004DD4: D3AC7000 000395D3 D3AD8C24 849259B8
	s_add_u32 m0, 0x12900, s64                                 // 000000004DE4: 807C40FF 00012900
	buffer_load_dwordx4 v214, s[12:15], 0 offen lds            // 000000004DEC: E05D1000 800300D6
	v_mfma_scale_f32_16x16x128_f8f6f4 a[40:43], v[188:191], v[40:43], a[40:43], v211, v202 op_sel_hi:[0,0,0] cbsz:4 blgp:4// 000000004DF4: D3AC6800 000395D3 D3AD8C28 84A251BC
	ds_read_b128 v[80:83], v223 offset:16960                   // 000000004E04: D9FE4240 500000DF
	v_mfma_scale_f32_16x16x128_f8f6f4 a[44:47], v[188:191], v[44:47], a[44:47], v211, v202 op_sel_hi:[0,0,0] cbsz:4 blgp:4// 000000004E0C: D3AC7800 000395D3 D3AD8C2C 84B259BC
	v_mfma_scale_f32_16x16x128_f8f6f4 a[32:35], v[192:195], v[48:51], a[32:35], v211, v202 op_sel_hi:[0,0,0] cbsz:4 blgp:4// 000000004E1C: D3AC6000 180395D3 D3AD8C20 848261C0
	ds_read_b128 v[76:79], v223 offset:17408                   // 000000004E2C: D9FE4400 4C0000DF
	v_mfma_scale_f32_16x16x128_f8f6f4 a[36:39], v[192:195], v[52:55], a[36:39], v211, v202 op_sel_hi:[0,0,0] cbsz:4 blgp:4// 000000004E34: D3AC7000 180395D3 D3AD8C24 849269C0
	s_add_u32 m0, 0x13980, s64                                 // 000000004E44: 807C40FF 00013980
	buffer_load_dwordx4 v215, s[12:15], 0 offen lds            // 000000004E4C: E05D1000 800300D7
	v_mfma_scale_f32_16x16x128_f8f6f4 a[40:43], v[196:199], v[48:51], a[40:43], v211, v202 op_sel_hi:[0,0,0] cbsz:4 blgp:4// 000000004E54: D3AC6800 180395D3 D3AD8C28 84A261C4
	ds_read_b128 v[84:87], v223 offset:17472                   // 000000004E64: D9FE4440 540000DF
	v_mfma_scale_f32_16x16x128_f8f6f4 a[44:47], v[196:199], v[52:55], a[44:47], v211, v202 op_sel_hi:[0,0,0] cbsz:4 blgp:4// 000000004E6C: D3AC7800 180395D3 D3AD8C2C 84B269C4
	ds_read_b32 v204, v226 offset:7168                         // 000000004E7C: D86C1C00 CC0000E2
	s_waitcnt lgkmcnt(5)                                       // 000000004E84: BF8CC57F
	v_mfma_scale_f32_16x16x128_f8f6f4 a[48:51], v[184:187], v[56:59], a[48:51], v211, v203 op_sel_hi:[0,0,0] cbsz:4 blgp:4// 000000004E88: D3AC6000 000397D3 D3AD8C30 84C271B8
	ds_read_b128 v[88:91], v223 offset:21120                   // 000000004E98: D9FE5280 580000DF
	v_mfma_scale_f32_16x16x128_f8f6f4 a[52:55], v[184:187], v[60:63], a[52:55], v211, v203 op_sel_hi:[0,0,0] cbsz:4 blgp:4// 000000004EA0: D3AC7000 000397D3 D3AD8C34 84D279B8
	s_add_u32 m0, 0x14a00, s64                                 // 000000004EB0: 807C40FF 00014A00
	buffer_load_dwordx4 v216, s[12:15], 0 offen lds            // 000000004EB8: E05D1000 800300D8
	v_mfma_scale_f32_16x16x128_f8f6f4 a[56:59], v[188:191], v[56:59], a[56:59], v211, v203 op_sel_hi:[0,0,0] cbsz:4 blgp:4// 000000004EC0: D3AC6800 000397D3 D3AD8C38 84E271BC
	ds_read_b128 v[96:99], v223 offset:21184                   // 000000004ED0: D9FE52C0 600000DF
	v_mfma_scale_f32_16x16x128_f8f6f4 a[60:63], v[188:191], v[60:63], a[60:63], v211, v203 op_sel_hi:[0,0,0] cbsz:4 blgp:4// 000000004ED8: D3AC7800 000397D3 D3AD8C3C 84F279BC
	v_mfma_scale_f32_16x16x128_f8f6f4 a[48:51], v[192:195], v[64:67], a[48:51], v211, v203 op_sel_hi:[0,0,0] cbsz:4 blgp:4// 000000004EE8: D3AC6000 180397D3 D3AD8C30 84C281C0
	ds_read_b128 v[92:95], v223 offset:21632                   // 000000004EF8: D9FE5480 5C0000DF
	v_mfma_scale_f32_16x16x128_f8f6f4 a[52:55], v[192:195], v[68:71], a[52:55], v211, v203 op_sel_hi:[0,0,0] cbsz:4 blgp:4// 000000004F00: D3AC7000 180397D3 D3AD8C34 84D289C0
	s_add_u32 m0, 0x15a80, s64                                 // 000000004F10: 807C40FF 00015A80
	buffer_load_dwordx4 v217, s[12:15], 0 offen lds            // 000000004F18: E05D1000 800300D9
	v_mfma_scale_f32_16x16x128_f8f6f4 a[56:59], v[196:199], v[64:67], a[56:59], v211, v203 op_sel_hi:[0,0,0] cbsz:4 blgp:4// 000000004F20: D3AC6800 180397D3 D3AD8C38 84E281C4
	ds_read_b128 v[100:103], v223 offset:21696                 // 000000004F30: D9FE54C0 640000DF
	v_mfma_scale_f32_16x16x128_f8f6f4 a[60:63], v[196:199], v[68:71], a[60:63], v211, v203 op_sel_hi:[0,0,0] cbsz:4 blgp:4// 000000004F38: D3AC7800 180397D3 D3AD8C3C 84F289C4
	ds_read_b32 v205, v226 offset:7424                         // 000000004F48: D86C1D00 CD0000E2
	s_waitcnt lgkmcnt(5)                                       // 000000004F50: BF8CC57F
	v_mfma_scale_f32_16x16x128_f8f6f4 a[64:67], v[184:187], v[72:75], a[64:67], v211, v204 op_sel_hi:[0,0,0] cbsz:4 blgp:4// 000000004F54: D3AC6000 000399D3 D3AD8C40 850291B8
	ds_read_b128 v[104:107], v223 offset:25344                 // 000000004F64: D9FE6300 680000DF
	v_mfma_scale_f32_16x16x128_f8f6f4 a[68:71], v[184:187], v[76:79], a[68:71], v211, v204 op_sel_hi:[0,0,0] cbsz:4 blgp:4// 000000004F6C: D3AC7000 000399D3 D3AD8C44 851299B8
	s_add_u32 m0, 0x16b00, s64                                 // 000000004F7C: 807C40FF 00016B00
	buffer_load_dwordx4 v218, s[12:15], 0 offen lds            // 000000004F84: E05D1000 800300DA
	v_mfma_scale_f32_16x16x128_f8f6f4 a[72:75], v[188:191], v[72:75], a[72:75], v211, v204 op_sel_hi:[0,0,0] cbsz:4 blgp:4// 000000004F8C: D3AC6800 000399D3 D3AD8C48 852291BC
	ds_read_b128 v[112:115], v223 offset:25408                 // 000000004F9C: D9FE6340 700000DF
	v_mfma_scale_f32_16x16x128_f8f6f4 a[76:79], v[188:191], v[76:79], a[76:79], v211, v204 op_sel_hi:[0,0,0] cbsz:4 blgp:4// 000000004FA4: D3AC7800 000399D3 D3AD8C4C 853299BC
	v_mfma_scale_f32_16x16x128_f8f6f4 a[64:67], v[192:195], v[80:83], a[64:67], v211, v204 op_sel_hi:[0,0,0] cbsz:4 blgp:4// 000000004FB4: D3AC6000 180399D3 D3AD8C40 8502A1C0
	ds_read_b128 v[108:111], v223 offset:25856                 // 000000004FC4: D9FE6500 6C0000DF
	v_mfma_scale_f32_16x16x128_f8f6f4 a[68:71], v[192:195], v[84:87], a[68:71], v211, v204 op_sel_hi:[0,0,0] cbsz:4 blgp:4// 000000004FCC: D3AC7000 180399D3 D3AD8C44 8512A9C0
	s_add_u32 m0, 0x17b80, s64                                 // 000000004FDC: 807C40FF 00017B80
	buffer_load_dwordx4 v219, s[12:15], 0 offen lds            // 000000004FE4: E05D1000 800300DB
	v_mfma_scale_f32_16x16x128_f8f6f4 a[72:75], v[196:199], v[80:83], a[72:75], v211, v204 op_sel_hi:[0,0,0] cbsz:4 blgp:4// 000000004FEC: D3AC6800 180399D3 D3AD8C48 8522A1C4
	s_add_u32 s62, 0x400, s60                                  // 000000004FFC: 803E3CFF 00000400
	ds_read_b128 v[116:119], v223 offset:25920                 // 000000005004: D9FE6540 740000DF
	v_mfma_scale_f32_16x16x128_f8f6f4 a[76:79], v[196:199], v[84:87], a[76:79], v211, v204 op_sel_hi:[0,0,0] cbsz:4 blgp:4// 00000000500C: D3AC7800 180399D3 D3AD8C4C 8532A9C4
	s_cmp_lt_u32 s62, s61                                      // 00000000501C: BF0A3D3E
	s_cselect_b32 s66, s66, 0                                  // 000000005020: 85428042
	ds_read_b32 v206, v226 offset:7680                         // 000000005024: D86C1E00 CE0000E2
	s_waitcnt lgkmcnt(5)                                       // 00000000502C: BF8CC57F
	v_mfma_scale_f32_16x16x128_f8f6f4 a[80:83], v[184:187], v[88:91], a[80:83], v211, v205 op_sel_hi:[0,0,0] cbsz:4 blgp:4// 000000005030: D3AC6000 00039BD3 D3AD8C50 8542B1B8
	s_cselect_b32 s68, s68, 0                                  // 000000005040: 85448044
	ds_read_b128 v[120:123], v223 offset:29568                 // 000000005044: D9FE7380 780000DF
	v_mfma_scale_f32_16x16x128_f8f6f4 a[84:87], v[184:187], v[92:95], a[84:87], v211, v205 op_sel_hi:[0,0,0] cbsz:4 blgp:4// 00000000504C: D3AC7000 00039BD3 D3AD8C54 8552B9B8
	s_add_u32 s12, s12, s66                                    // 00000000505C: 800C420C
	buffer_load_dwordx4 v[168:171], v227, s[16:19], 0 offen    // 000000005060: E05C1000 8004A8E3
	v_mfma_scale_f32_16x16x128_f8f6f4 a[88:91], v[188:191], v[88:91], a[88:91], v211, v205 op_sel_hi:[0,0,0] cbsz:4 blgp:4// 000000005068: D3AC6800 00039BD3 D3AD8C58 8562B1BC
	s_addc_u32 s13, 0, s13                                     // 000000005078: 820D0D80
	ds_read_b128 v[128:131], v223 offset:29632                 // 00000000507C: D9FE73C0 800000DF
	v_mfma_scale_f32_16x16x128_f8f6f4 a[92:95], v[188:191], v[92:95], a[92:95], v211, v205 op_sel_hi:[0,0,0] cbsz:4 blgp:4// 000000005084: D3AC7800 00039BD3 D3AD8C5C 8572B9BC
	s_sub_u32 s14, s14, s66                                    // 000000005094: 808E420E
	s_add_u32 s20, s20, s68                                    // 000000005098: 80144414
	v_mfma_scale_f32_16x16x128_f8f6f4 a[80:83], v[192:195], v[96:99], a[80:83], v211, v205 op_sel_hi:[0,0,0] cbsz:4 blgp:4// 00000000509C: D3AC6000 18039BD3 D3AD8C50 8542C1C0
	s_addc_u32 s21, 0, s21                                     // 0000000050AC: 82151580
	ds_read_b128 v[124:127], v223 offset:30080                 // 0000000050B0: D9FE7580 7C0000DF
	v_mfma_scale_f32_16x16x128_f8f6f4 a[84:87], v[192:195], v[100:103], a[84:87], v211, v205 op_sel_hi:[0,0,0] cbsz:4 blgp:4// 0000000050B8: D3AC7000 18039BD3 D3AD8C54 8552C9C0
	s_sub_u32 s22, s22, s68                                    // 0000000050C8: 80964416
	buffer_load_dwordx4 v[172:175], v228, s[16:19], 0 offen    // 0000000050CC: E05C1000 8004ACE4
	v_mfma_scale_f32_16x16x128_f8f6f4 a[88:91], v[196:199], v[96:99], a[88:91], v211, v205 op_sel_hi:[0,0,0] cbsz:4 blgp:4// 0000000050D4: D3AC6800 18039BD3 D3AD8C58 8562C1C4
	s_add_u32 s63, 0x400, s60                                  // 0000000050E4: 803F3CFF 00000400
	ds_read_b128 v[132:135], v223 offset:30144                 // 0000000050EC: D9FE75C0 840000DF
	v_mfma_scale_f32_16x16x128_f8f6f4 a[92:95], v[196:199], v[100:103], a[92:95], v211, v205 op_sel_hi:[0,0,0] cbsz:4 blgp:4// 0000000050F4: D3AC7800 18039BD3 D3AD8C5C 8572C9C4
	s_cmp_lt_u32 s63, s61                                      // 000000005104: BF0A3D3F
	s_cselect_b32 s67, s67, 0                                  // 000000005108: 85438043
	ds_read_b32 v207, v226 offset:7936                         // 00000000510C: D86C1F00 CF0000E2
	s_waitcnt vmcnt(38) lgkmcnt(5)                             // 000000005114: BF8C8576
	s_barrier                                                  // 000000005118: BF8A0000
	v_mfma_scale_f32_16x16x128_f8f6f4 a[96:99], v[184:187], v[104:107], a[96:99], v211, v206 op_sel_hi:[0,0,0] cbsz:4 blgp:4// 00000000511C: D3AC6000 00039DD3 D3AD8C60 8582D1B8
	s_cselect_b32 s69, s69, 0                                  // 00000000512C: 85458045
	ds_read_b128 v[8:11], v220                                 // 000000005130: D9FE0000 080000DC
	v_mfma_scale_f32_16x16x128_f8f6f4 a[100:103], v[184:187], v[108:111], a[100:103], v211, v206 op_sel_hi:[0,0,0] cbsz:4 blgp:4// 000000005138: D3AC7000 00039DD3 D3AD8C64 8592D9B8
	buffer_load_dwordx4 v[176:179], v227, s[16:19], 0 offen offset:1024// 000000005148: E05C1400 8004B0E3
	v_mfma_scale_f32_16x16x128_f8f6f4 a[104:107], v[188:191], v[104:107], a[104:107], v211, v206 op_sel_hi:[0,0,0] cbsz:4 blgp:4// 000000005150: D3AC6800 00039DD3 D3AD8C68 85A2D1BC
	ds_read_b128 v[16:19], v220 offset:64                      // 000000005160: D9FE0040 100000DC
	v_mfma_scale_f32_16x16x128_f8f6f4 a[108:111], v[188:191], v[108:111], a[108:111], v211, v206 op_sel_hi:[0,0,0] cbsz:4 blgp:4// 000000005168: D3AC7800 00039DD3 D3AD8C6C 85B2D9BC
	v_mfma_scale_f32_16x16x128_f8f6f4 a[96:99], v[192:195], v[112:115], a[96:99], v211, v206 op_sel_hi:[0,0,0] cbsz:4 blgp:4// 000000005178: D3AC6000 18039DD3 D3AD8C60 8582E1C0
	ds_read_b128 v[12:15], v220 offset:512                     // 000000005188: D9FE0200 0C0000DC
	v_mfma_scale_f32_16x16x128_f8f6f4 a[100:103], v[192:195], v[116:119], a[100:103], v211, v206 op_sel_hi:[0,0,0] cbsz:4 blgp:4// 000000005190: D3AC7000 18039DD3 D3AD8C64 8592E9C0
	buffer_load_dwordx4 v[180:183], v228, s[16:19], 0 offen offset:1024// 0000000051A0: E05C1400 8004B4E4
	v_mfma_scale_f32_16x16x128_f8f6f4 a[104:107], v[196:199], v[112:115], a[104:107], v211, v206 op_sel_hi:[0,0,0] cbsz:4 blgp:4// 0000000051A8: D3AC6800 18039DD3 D3AD8C68 85A2E1C4
	ds_read_b128 v[20:23], v220 offset:576                     // 0000000051B8: D9FE0240 140000DC
	v_mfma_scale_f32_16x16x128_f8f6f4 a[108:111], v[196:199], v[116:119], a[108:111], v211, v206 op_sel_hi:[0,0,0] cbsz:4 blgp:4// 0000000051C0: D3AC7800 18039DD3 D3AD8C6C 85B2E9C4
	ds_read_b32 v200, v226                                     // 0000000051D0: D86C0000 C80000E2
	s_waitcnt lgkmcnt(5)                                       // 0000000051D8: BF8CC57F
	v_mfma_scale_f32_16x16x128_f8f6f4 a[112:115], v[184:187], v[120:123], a[112:115], v211, v207 op_sel_hi:[0,0,0] cbsz:4 blgp:4// 0000000051DC: D3AC6000 00039FD3 D3AD8C70 85C2F1B8
	ds_read_b128 v[24:27], v220 offset:4224                    // 0000000051EC: D9FE1080 180000DC
	v_mfma_scale_f32_16x16x128_f8f6f4 a[116:119], v[184:187], v[124:127], a[116:119], v211, v207 op_sel_hi:[0,0,0] cbsz:4 blgp:4// 0000000051F4: D3AC7000 00039FD3 D3AD8C74 85D2F9B8
	buffer_load_dword v210, v229, s[24:27], 0 offen            // 000000005204: E0501000 8006D2E5
	v_mfma_scale_f32_16x16x128_f8f6f4 a[120:123], v[188:191], v[120:123], a[120:123], v211, v207 op_sel_hi:[0,0,0] cbsz:4 blgp:4// 00000000520C: D3AC6800 00039FD3 D3AD8C78 85E2F1BC
	s_add_u32 s16, s16, s67                                    // 00000000521C: 80104310
	ds_read_b128 v[32:35], v220 offset:4288                    // 000000005220: D9FE10C0 200000DC
	v_mfma_scale_f32_16x16x128_f8f6f4 a[124:127], v[188:191], v[124:127], a[124:127], v211, v207 op_sel_hi:[0,0,0] cbsz:4 blgp:4// 000000005228: D3AC7800 00039FD3 D3AD8C7C 85F2F9BC
	s_addc_u32 s17, 0, s17                                     // 000000005238: 82111180
	s_sub_u32 s18, s18, s67                                    // 00000000523C: 80924312
	v_mfma_scale_f32_16x16x128_f8f6f4 a[112:115], v[192:195], v[128:131], a[112:115], v211, v207 op_sel_hi:[0,0,0] cbsz:4 blgp:4// 000000005240: D3AC6000 18039FD3 D3AD8C70 85C301C0
	s_add_u32 s24, s24, s69                                    // 000000005250: 80184518
	ds_read_b128 v[28:31], v220 offset:4736                    // 000000005254: D9FE1280 1C0000DC
	v_mfma_scale_f32_16x16x128_f8f6f4 a[116:119], v[192:195], v[132:135], a[116:119], v211, v207 op_sel_hi:[0,0,0] cbsz:4 blgp:4// 00000000525C: D3AC7000 18039FD3 D3AD8C74 85D309C0
	s_addc_u32 s25, 0, s25                                     // 00000000526C: 82191980
	s_sub_u32 s26, s26, s69                                    // 000000005270: 809A451A
	v_mfma_scale_f32_16x16x128_f8f6f4 a[120:123], v[196:199], v[128:131], a[120:123], v211, v207 op_sel_hi:[0,0,0] cbsz:4 blgp:4// 000000005274: D3AC6800 18039FD3 D3AD8C78 85E301C4
	s_addk_i32 s60, 0x100                                      // 000000005284: B73C0100
	ds_read_b128 v[36:39], v220 offset:4800                    // 000000005288: D9FE12C0 240000DC
	v_mfma_scale_f32_16x16x128_f8f6f4 a[124:127], v[196:199], v[132:135], a[124:127], v211, v207 op_sel_hi:[0,0,0] cbsz:4 blgp:4// 000000005290: D3AC7800 18039FD3 D3AD8C7C 85F309C4
	s_cmp_lt_i32 s60, s61                                      // 0000000052A0: BF043D3C
	ds_read_b32 v201, v226 offset:256                          // 0000000052A4: D86C0100 C90000E2
	s_cbranch_scc0 label_1040                                  // 0000000052AC: BF840694
	s_branch label_031A                                        // 0000000052B0: BF82F96D

00000000000052b4 <label_09AD>:
	s_waitcnt vmcnt(30) lgkmcnt(5)                             // 0000000052B4: BF8C457E
	s_barrier                                                  // 0000000052B8: BF8A0000
	v_mfma_scale_f32_16x16x128_f8f6f4 a[0:3], v[136:139], v[8:11], a[0:3], v208, v200 op_sel_hi:[0,0,0] cbsz:4 blgp:4// 0000000052BC: D3AC6000 000391D0 D3AD8C00 84021188
	s_add_u32 m0, 0x1800, s65                                  // 0000000052CC: 807C41FF 00001800
	buffer_load_dword v224, s[20:23], 0 offen lds              // 0000000052D4: E0511000 800500E0
	v_mfma_scale_f32_16x16x128_f8f6f4 a[4:7], v[136:139], v[12:15], a[4:7], v208, v200 op_sel_hi:[0,0,0] cbsz:4 blgp:4// 0000000052DC: D3AC7000 000391D0 D3AD8C04 84121988
	ds_read_b128 v[40:43], v220 offset:8448                    // 0000000052EC: D9FE2100 280000DC
	v_mfma_scale_f32_16x16x128_f8f6f4 a[8:11], v[140:143], v[8:11], a[8:11], v208, v200 op_sel_hi:[0,0,0] cbsz:4 blgp:4// 0000000052F4: D3AC6800 000391D0 D3AD8C08 8422118C
	v_mfma_scale_f32_16x16x128_f8f6f4 a[12:15], v[140:143], v[12:15], a[12:15], v208, v200 op_sel_hi:[0,0,0] cbsz:4 blgp:4// 000000005304: D3AC7800 000391D0 D3AD8C0C 8432198C
	ds_read_b128 v[48:51], v220 offset:8512                    // 000000005314: D9FE2140 300000DC
	v_mfma_scale_f32_16x16x128_f8f6f4 a[0:3], v[144:147], v[16:19], a[0:3], v208, v200 op_sel_hi:[0,0,0] cbsz:4 blgp:4// 00000000531C: D3AC6000 180391D0 D3AD8C00 84022190
	s_add_u32 m0, 0x1c00, s65                                  // 00000000532C: 807C41FF 00001C00
	buffer_load_dword v225, s[20:23], 0 offen lds              // 000000005334: E0511000 800500E1
	v_mfma_scale_f32_16x16x128_f8f6f4 a[4:7], v[144:147], v[20:23], a[4:7], v208, v200 op_sel_hi:[0,0,0] cbsz:4 blgp:4// 00000000533C: D3AC7000 180391D0 D3AD8C04 84122990
	ds_read_b128 v[44:47], v220 offset:8960                    // 00000000534C: D9FE2300 2C0000DC
	v_mfma_scale_f32_16x16x128_f8f6f4 a[8:11], v[148:151], v[16:19], a[8:11], v208, v200 op_sel_hi:[0,0,0] cbsz:4 blgp:4// 000000005354: D3AC6800 180391D0 D3AD8C08 84222194
	v_mfma_scale_f32_16x16x128_f8f6f4 a[12:15], v[148:151], v[20:23], a[12:15], v208, v200 op_sel_hi:[0,0,0] cbsz:4 blgp:4// 000000005364: D3AC7800 180391D0 D3AD8C0C 84322994
	ds_read_b128 v[52:55], v220 offset:9024                    // 000000005374: D9FE2340 340000DC
	ds_read_b32 v202, v226 offset:512                          // 00000000537C: D86C0200 CA0000E2
	s_waitcnt lgkmcnt(5)                                       // 000000005384: BF8CC57F
	v_mfma_scale_f32_16x16x128_f8f6f4 a[16:19], v[136:139], v[24:27], a[16:19], v208, v201 op_sel_hi:[0,0,0] cbsz:4 blgp:4// 000000005388: D3AC6000 000393D0 D3AD8C10 84423188
	s_add_u32 m0, 0x18c00, s64                                 // 000000005398: 807C40FF 00018C00
	buffer_load_dwordx4 v212, s[12:15], 0 offen lds            // 0000000053A0: E05D1000 800300D4
	v_mfma_scale_f32_16x16x128_f8f6f4 a[20:23], v[136:139], v[28:31], a[20:23], v208, v201 op_sel_hi:[0,0,0] cbsz:4 blgp:4// 0000000053A8: D3AC7000 000393D0 D3AD8C14 84523988
	ds_read_b128 v[56:59], v220 offset:12672                   // 0000000053B8: D9FE3180 380000DC
	v_mfma_scale_f32_16x16x128_f8f6f4 a[24:27], v[140:143], v[24:27], a[24:27], v208, v201 op_sel_hi:[0,0,0] cbsz:4 blgp:4// 0000000053C0: D3AC6800 000393D0 D3AD8C18 8462318C
	v_mfma_scale_f32_16x16x128_f8f6f4 a[28:31], v[140:143], v[28:31], a[28:31], v208, v201 op_sel_hi:[0,0,0] cbsz:4 blgp:4// 0000000053D0: D3AC7800 000393D0 D3AD8C1C 8472398C
	ds_read_b128 v[64:67], v220 offset:12736                   // 0000000053E0: D9FE31C0 400000DC
	v_mfma_scale_f32_16x16x128_f8f6f4 a[16:19], v[144:147], v[32:35], a[16:19], v208, v201 op_sel_hi:[0,0,0] cbsz:4 blgp:4// 0000000053E8: D3AC6000 180393D0 D3AD8C10 84424190
	s_add_u32 m0, 0x19c80, s64                                 // 0000000053F8: 807C40FF 00019C80
	buffer_load_dwordx4 v213, s[12:15], 0 offen lds            // 000000005400: E05D1000 800300D5
	v_mfma_scale_f32_16x16x128_f8f6f4 a[20:23], v[144:147], v[36:39], a[20:23], v208, v201 op_sel_hi:[0,0,0] cbsz:4 blgp:4// 000000005408: D3AC7000 180393D0 D3AD8C14 84524990
	ds_read_b128 v[60:63], v220 offset:13184                   // 000000005418: D9FE3380 3C0000DC
	v_mfma_scale_f32_16x16x128_f8f6f4 a[24:27], v[148:151], v[32:35], a[24:27], v208, v201 op_sel_hi:[0,0,0] cbsz:4 blgp:4// 000000005420: D3AC6800 180393D0 D3AD8C18 84624194
	v_mfma_scale_f32_16x16x128_f8f6f4 a[28:31], v[148:151], v[36:39], a[28:31], v208, v201 op_sel_hi:[0,0,0] cbsz:4 blgp:4// 000000005430: D3AC7800 180393D0 D3AD8C1C 84724994
	ds_read_b128 v[68:71], v220 offset:13248                   // 000000005440: D9FE33C0 440000DC
	ds_read_b32 v203, v226 offset:768                          // 000000005448: D86C0300 CB0000E2
	s_waitcnt lgkmcnt(5)                                       // 000000005450: BF8CC57F
	v_mfma_scale_f32_16x16x128_f8f6f4 a[32:35], v[136:139], v[40:43], a[32:35], v208, v202 op_sel_hi:[0,0,0] cbsz:4 blgp:4// 000000005454: D3AC6000 000395D0 D3AD8C20 84825188
	s_add_u32 m0, 0x1ad00, s64                                 // 000000005464: 807C40FF 0001AD00
	buffer_load_dwordx4 v214, s[12:15], 0 offen lds            // 00000000546C: E05D1000 800300D6
	v_mfma_scale_f32_16x16x128_f8f6f4 a[36:39], v[136:139], v[44:47], a[36:39], v208, v202 op_sel_hi:[0,0,0] cbsz:4 blgp:4// 000000005474: D3AC7000 000395D0 D3AD8C24 84925988
	ds_read_b128 v[72:75], v220 offset:16896                   // 000000005484: D9FE4200 480000DC
	v_mfma_scale_f32_16x16x128_f8f6f4 a[40:43], v[140:143], v[40:43], a[40:43], v208, v202 op_sel_hi:[0,0,0] cbsz:4 blgp:4// 00000000548C: D3AC6800 000395D0 D3AD8C28 84A2518C
	v_mfma_scale_f32_16x16x128_f8f6f4 a[44:47], v[140:143], v[44:47], a[44:47], v208, v202 op_sel_hi:[0,0,0] cbsz:4 blgp:4// 00000000549C: D3AC7800 000395D0 D3AD8C2C 84B2598C
	ds_read_b128 v[80:83], v220 offset:16960                   // 0000000054AC: D9FE4240 500000DC
	v_mfma_scale_f32_16x16x128_f8f6f4 a[32:35], v[144:147], v[48:51], a[32:35], v208, v202 op_sel_hi:[0,0,0] cbsz:4 blgp:4// 0000000054B4: D3AC6000 180395D0 D3AD8C20 84826190
	s_add_u32 m0, 0x1bd80, s64                                 // 0000000054C4: 807C40FF 0001BD80
	buffer_load_dwordx4 v215, s[12:15], 0 offen lds            // 0000000054CC: E05D1000 800300D7
	v_mfma_scale_f32_16x16x128_f8f6f4 a[36:39], v[144:147], v[52:55], a[36:39], v208, v202 op_sel_hi:[0,0,0] cbsz:4 blgp:4// 0000000054D4: D3AC7000 180395D0 D3AD8C24 84926990
	ds_read_b128 v[76:79], v220 offset:17408                   // 0000000054E4: D9FE4400 4C0000DC
	v_mfma_scale_f32_16x16x128_f8f6f4 a[40:43], v[148:151], v[48:51], a[40:43], v208, v202 op_sel_hi:[0,0,0] cbsz:4 blgp:4// 0000000054EC: D3AC6800 180395D0 D3AD8C28 84A26194
	v_mfma_scale_f32_16x16x128_f8f6f4 a[44:47], v[148:151], v[52:55], a[44:47], v208, v202 op_sel_hi:[0,0,0] cbsz:4 blgp:4// 0000000054FC: D3AC7800 180395D0 D3AD8C2C 84B26994
	ds_read_b128 v[84:87], v220 offset:17472                   // 00000000550C: D9FE4440 540000DC
	ds_read_b32 v204, v226 offset:1024                         // 000000005514: D86C0400 CC0000E2
	s_waitcnt lgkmcnt(5)                                       // 00000000551C: BF8CC57F
	v_mfma_scale_f32_16x16x128_f8f6f4 a[48:51], v[136:139], v[56:59], a[48:51], v208, v203 op_sel_hi:[0,0,0] cbsz:4 blgp:4// 000000005520: D3AC6000 000397D0 D3AD8C30 84C27188
	s_add_u32 m0, 0x1ce00, s64                                 // 000000005530: 807C40FF 0001CE00
	buffer_load_dwordx4 v216, s[12:15], 0 offen lds            // 000000005538: E05D1000 800300D8
	v_mfma_scale_f32_16x16x128_f8f6f4 a[52:55], v[136:139], v[60:63], a[52:55], v208, v203 op_sel_hi:[0,0,0] cbsz:4 blgp:4// 000000005540: D3AC7000 000397D0 D3AD8C34 84D27988
	ds_read_b128 v[88:91], v220 offset:21120                   // 000000005550: D9FE5280 580000DC
	v_mfma_scale_f32_16x16x128_f8f6f4 a[56:59], v[140:143], v[56:59], a[56:59], v208, v203 op_sel_hi:[0,0,0] cbsz:4 blgp:4// 000000005558: D3AC6800 000397D0 D3AD8C38 84E2718C
	v_mfma_scale_f32_16x16x128_f8f6f4 a[60:63], v[140:143], v[60:63], a[60:63], v208, v203 op_sel_hi:[0,0,0] cbsz:4 blgp:4// 000000005568: D3AC7800 000397D0 D3AD8C3C 84F2798C
	ds_read_b128 v[96:99], v220 offset:21184                   // 000000005578: D9FE52C0 600000DC
	v_mfma_scale_f32_16x16x128_f8f6f4 a[48:51], v[144:147], v[64:67], a[48:51], v208, v203 op_sel_hi:[0,0,0] cbsz:4 blgp:4// 000000005580: D3AC6000 180397D0 D3AD8C30 84C28190
	s_add_u32 m0, 0x1de80, s64                                 // 000000005590: 807C40FF 0001DE80
	buffer_load_dwordx4 v217, s[12:15], 0 offen lds            // 000000005598: E05D1000 800300D9
	v_mfma_scale_f32_16x16x128_f8f6f4 a[52:55], v[144:147], v[68:71], a[52:55], v208, v203 op_sel_hi:[0,0,0] cbsz:4 blgp:4// 0000000055A0: D3AC7000 180397D0 D3AD8C34 84D28990
	ds_read_b128 v[92:95], v220 offset:21632                   // 0000000055B0: D9FE5480 5C0000DC
	v_mfma_scale_f32_16x16x128_f8f6f4 a[56:59], v[148:151], v[64:67], a[56:59], v208, v203 op_sel_hi:[0,0,0] cbsz:4 blgp:4// 0000000055B8: D3AC6800 180397D0 D3AD8C38 84E28194
	v_mfma_scale_f32_16x16x128_f8f6f4 a[60:63], v[148:151], v[68:71], a[60:63], v208, v203 op_sel_hi:[0,0,0] cbsz:4 blgp:4// 0000000055C8: D3AC7800 180397D0 D3AD8C3C 84F28994
	ds_read_b128 v[100:103], v220 offset:21696                 // 0000000055D8: D9FE54C0 640000DC
	ds_read_b32 v205, v226 offset:1280                         // 0000000055E0: D86C0500 CD0000E2
	s_waitcnt lgkmcnt(5)                                       // 0000000055E8: BF8CC57F
	v_mfma_scale_f32_16x16x128_f8f6f4 a[64:67], v[136:139], v[72:75], a[64:67], v208, v204 op_sel_hi:[0,0,0] cbsz:4 blgp:4// 0000000055EC: D3AC6000 000399D0 D3AD8C40 85029188
	s_add_u32 m0, 0x1ef00, s64                                 // 0000000055FC: 807C40FF 0001EF00
	buffer_load_dwordx4 v218, s[12:15], 0 offen lds            // 000000005604: E05D1000 800300DA
	v_mfma_scale_f32_16x16x128_f8f6f4 a[68:71], v[136:139], v[76:79], a[68:71], v208, v204 op_sel_hi:[0,0,0] cbsz:4 blgp:4// 00000000560C: D3AC7000 000399D0 D3AD8C44 85129988
	ds_read_b128 v[104:107], v220 offset:25344                 // 00000000561C: D9FE6300 680000DC
	v_mfma_scale_f32_16x16x128_f8f6f4 a[72:75], v[140:143], v[72:75], a[72:75], v208, v204 op_sel_hi:[0,0,0] cbsz:4 blgp:4// 000000005624: D3AC6800 000399D0 D3AD8C48 8522918C
	v_mfma_scale_f32_16x16x128_f8f6f4 a[76:79], v[140:143], v[76:79], a[76:79], v208, v204 op_sel_hi:[0,0,0] cbsz:4 blgp:4// 000000005634: D3AC7800 000399D0 D3AD8C4C 8532998C
	ds_read_b128 v[112:115], v220 offset:25408                 // 000000005644: D9FE6340 700000DC
	v_mfma_scale_f32_16x16x128_f8f6f4 a[64:67], v[144:147], v[80:83], a[64:67], v208, v204 op_sel_hi:[0,0,0] cbsz:4 blgp:4// 00000000564C: D3AC6000 180399D0 D3AD8C40 8502A190
	s_add_u32 m0, 0x1ff80, s64                                 // 00000000565C: 807C40FF 0001FF80
	buffer_load_dwordx4 v219, s[12:15], 0 offen lds            // 000000005664: E05D1000 800300DB
	v_mfma_scale_f32_16x16x128_f8f6f4 a[68:71], v[144:147], v[84:87], a[68:71], v208, v204 op_sel_hi:[0,0,0] cbsz:4 blgp:4// 00000000566C: D3AC7000 180399D0 D3AD8C44 8512A990
	s_add_u32 s62, 0x400, s60                                  // 00000000567C: 803E3CFF 00000400
	ds_read_b128 v[108:111], v220 offset:25856                 // 000000005684: D9FE6500 6C0000DC
	v_mfma_scale_f32_16x16x128_f8f6f4 a[72:75], v[148:151], v[80:83], a[72:75], v208, v204 op_sel_hi:[0,0,0] cbsz:4 blgp:4// 00000000568C: D3AC6800 180399D0 D3AD8C48 8522A194
	s_cmp_lt_u32 s62, s61                                      // 00000000569C: BF0A3D3E
	s_cselect_b32 s66, s66, 0                                  // 0000000056A0: 85428042
	v_mfma_scale_f32_16x16x128_f8f6f4 a[76:79], v[148:151], v[84:87], a[76:79], v208, v204 op_sel_hi:[0,0,0] cbsz:4 blgp:4// 0000000056A4: D3AC7800 180399D0 D3AD8C4C 8532A994
	s_cselect_b32 s68, s68, 0                                  // 0000000056B4: 85448044
	ds_read_b128 v[116:119], v220 offset:25920                 // 0000000056B8: D9FE6540 740000DC
	ds_read_b32 v206, v226 offset:1536                         // 0000000056C0: D86C0600 CE0000E2
	s_waitcnt lgkmcnt(5)                                       // 0000000056C8: BF8CC57F
	v_mfma_scale_f32_16x16x128_f8f6f4 a[80:83], v[136:139], v[88:91], a[80:83], v208, v205 op_sel_hi:[0,0,0] cbsz:4 blgp:4// 0000000056CC: D3AC6000 00039BD0 D3AD8C50 8542B188
	s_add_u32 s12, s12, s66                                    // 0000000056DC: 800C420C
	buffer_load_dwordx4 v[184:187], v227, s[16:19], 0 offen    // 0000000056E0: E05C1000 8004B8E3
	v_mfma_scale_f32_16x16x128_f8f6f4 a[84:87], v[136:139], v[92:95], a[84:87], v208, v205 op_sel_hi:[0,0,0] cbsz:4 blgp:4// 0000000056E8: D3AC7000 00039BD0 D3AD8C54 8552B988
	s_addc_u32 s13, 0, s13                                     // 0000000056F8: 820D0D80
	ds_read_b128 v[120:123], v220 offset:29568                 // 0000000056FC: D9FE7380 780000DC
	v_mfma_scale_f32_16x16x128_f8f6f4 a[88:91], v[140:143], v[88:91], a[88:91], v208, v205 op_sel_hi:[0,0,0] cbsz:4 blgp:4// 000000005704: D3AC6800 00039BD0 D3AD8C58 8562B18C
	s_sub_u32 s14, s14, s66                                    // 000000005714: 808E420E
	s_add_u32 s20, s20, s68                                    // 000000005718: 80144414
	v_mfma_scale_f32_16x16x128_f8f6f4 a[92:95], v[140:143], v[92:95], a[92:95], v208, v205 op_sel_hi:[0,0,0] cbsz:4 blgp:4// 00000000571C: D3AC7800 00039BD0 D3AD8C5C 8572B98C
	s_addc_u32 s21, 0, s21                                     // 00000000572C: 82151580
	ds_read_b128 v[128:131], v220 offset:29632                 // 000000005730: D9FE73C0 800000DC
	v_mfma_scale_f32_16x16x128_f8f6f4 a[80:83], v[144:147], v[96:99], a[80:83], v208, v205 op_sel_hi:[0,0,0] cbsz:4 blgp:4// 000000005738: D3AC6000 18039BD0 D3AD8C50 8542C190
	s_sub_u32 s22, s22, s68                                    // 000000005748: 80964416
	buffer_load_dwordx4 v[188:191], v228, s[16:19], 0 offen    // 00000000574C: E05C1000 8004BCE4
	v_mfma_scale_f32_16x16x128_f8f6f4 a[84:87], v[144:147], v[100:103], a[84:87], v208, v205 op_sel_hi:[0,0,0] cbsz:4 blgp:4// 000000005754: D3AC7000 18039BD0 D3AD8C54 8552C990
	s_add_u32 s63, 0x400, s60                                  // 000000005764: 803F3CFF 00000400
	ds_read_b128 v[124:127], v220 offset:30080                 // 00000000576C: D9FE7580 7C0000DC
	v_mfma_scale_f32_16x16x128_f8f6f4 a[88:91], v[148:151], v[96:99], a[88:91], v208, v205 op_sel_hi:[0,0,0] cbsz:4 blgp:4// 000000005774: D3AC6800 18039BD0 D3AD8C58 8562C194
	s_cmp_lt_u32 s63, s61                                      // 000000005784: BF0A3D3F
	s_cselect_b32 s67, s67, 0                                  // 000000005788: 85438043
	v_mfma_scale_f32_16x16x128_f8f6f4 a[92:95], v[148:151], v[100:103], a[92:95], v208, v205 op_sel_hi:[0,0,0] cbsz:4 blgp:4// 00000000578C: D3AC7800 18039BD0 D3AD8C5C 8572C994
	s_cselect_b32 s69, s69, 0                                  // 00000000579C: 85458045
	ds_read_b128 v[132:135], v220 offset:30144                 // 0000000057A0: D9FE75C0 840000DC
	ds_read_b32 v207, v226 offset:1792                         // 0000000057A8: D86C0700 CF0000E2
	s_waitcnt vmcnt(38) lgkmcnt(5)                             // 0000000057B0: BF8C8576
	s_barrier                                                  // 0000000057B4: BF8A0000
	v_mfma_scale_f32_16x16x128_f8f6f4 a[96:99], v[136:139], v[104:107], a[96:99], v208, v206 op_sel_hi:[0,0,0] cbsz:4 blgp:4// 0000000057B8: D3AC6000 00039DD0 D3AD8C60 8582D188
	buffer_load_dwordx4 v[192:195], v227, s[16:19], 0 offen offset:1024// 0000000057C8: E05C1400 8004C0E3
	v_mfma_scale_f32_16x16x128_f8f6f4 a[100:103], v[136:139], v[108:111], a[100:103], v208, v206 op_sel_hi:[0,0,0] cbsz:4 blgp:4// 0000000057D0: D3AC7000 00039DD0 D3AD8C64 8592D988
	ds_read_b128 v[8:11], v221                                 // 0000000057E0: D9FE0000 080000DD
	v_mfma_scale_f32_16x16x128_f8f6f4 a[104:107], v[140:143], v[104:107], a[104:107], v208, v206 op_sel_hi:[0,0,0] cbsz:4 blgp:4// 0000000057E8: D3AC6800 00039DD0 D3AD8C68 85A2D18C
	v_mfma_scale_f32_16x16x128_f8f6f4 a[108:111], v[140:143], v[108:111], a[108:111], v208, v206 op_sel_hi:[0,0,0] cbsz:4 blgp:4// 0000000057F8: D3AC7800 00039DD0 D3AD8C6C 85B2D98C
	ds_read_b128 v[16:19], v221 offset:64                      // 000000005808: D9FE0040 100000DD
	v_mfma_scale_f32_16x16x128_f8f6f4 a[96:99], v[144:147], v[112:115], a[96:99], v208, v206 op_sel_hi:[0,0,0] cbsz:4 blgp:4// 000000005810: D3AC6000 18039DD0 D3AD8C60 8582E190
	buffer_load_dwordx4 v[196:199], v228, s[16:19], 0 offen offset:1024// 000000005820: E05C1400 8004C4E4
	v_mfma_scale_f32_16x16x128_f8f6f4 a[100:103], v[144:147], v[116:119], a[100:103], v208, v206 op_sel_hi:[0,0,0] cbsz:4 blgp:4// 000000005828: D3AC7000 18039DD0 D3AD8C64 8592E990
	ds_read_b128 v[12:15], v221 offset:512                     // 000000005838: D9FE0200 0C0000DD
	v_mfma_scale_f32_16x16x128_f8f6f4 a[104:107], v[148:151], v[112:115], a[104:107], v208, v206 op_sel_hi:[0,0,0] cbsz:4 blgp:4// 000000005840: D3AC6800 18039DD0 D3AD8C68 85A2E194
	v_mfma_scale_f32_16x16x128_f8f6f4 a[108:111], v[148:151], v[116:119], a[108:111], v208, v206 op_sel_hi:[0,0,0] cbsz:4 blgp:4// 000000005850: D3AC7800 18039DD0 D3AD8C6C 85B2E994
	ds_read_b128 v[20:23], v221 offset:576                     // 000000005860: D9FE0240 140000DD
	ds_read_b32 v200, v226 offset:2048                         // 000000005868: D86C0800 C80000E2
	s_waitcnt lgkmcnt(5)                                       // 000000005870: BF8CC57F
	v_mfma_scale_f32_16x16x128_f8f6f4 a[112:115], v[136:139], v[120:123], a[112:115], v208, v207 op_sel_hi:[0,0,0] cbsz:4 blgp:4// 000000005874: D3AC6000 00039FD0 D3AD8C70 85C2F188
	buffer_load_dword v211, v229, s[24:27], 0 offen            // 000000005884: E0501000 8006D3E5
	v_mfma_scale_f32_16x16x128_f8f6f4 a[116:119], v[136:139], v[124:127], a[116:119], v208, v207 op_sel_hi:[0,0,0] cbsz:4 blgp:4// 00000000588C: D3AC7000 00039FD0 D3AD8C74 85D2F988
	s_add_u32 s16, s16, s67                                    // 00000000589C: 80104310
	ds_read_b128 v[24:27], v221 offset:4224                    // 0000000058A0: D9FE1080 180000DD
	v_mfma_scale_f32_16x16x128_f8f6f4 a[120:123], v[140:143], v[120:123], a[120:123], v208, v207 op_sel_hi:[0,0,0] cbsz:4 blgp:4// 0000000058A8: D3AC6800 00039FD0 D3AD8C78 85E2F18C
	s_addc_u32 s17, 0, s17                                     // 0000000058B8: 82111180
	s_sub_u32 s18, s18, s67                                    // 0000000058BC: 80924312
	v_mfma_scale_f32_16x16x128_f8f6f4 a[124:127], v[140:143], v[124:127], a[124:127], v208, v207 op_sel_hi:[0,0,0] cbsz:4 blgp:4// 0000000058C0: D3AC7800 00039FD0 D3AD8C7C 85F2F98C
	s_add_u32 s24, s24, s69                                    // 0000000058D0: 80184518
	ds_read_b128 v[32:35], v221 offset:4288                    // 0000000058D4: D9FE10C0 200000DD
	v_mfma_scale_f32_16x16x128_f8f6f4 a[112:115], v[144:147], v[128:131], a[112:115], v208, v207 op_sel_hi:[0,0,0] cbsz:4 blgp:4// 0000000058DC: D3AC6000 18039FD0 D3AD8C70 85C30190
	s_addc_u32 s25, 0, s25                                     // 0000000058EC: 82191980
	s_sub_u32 s26, s26, s69                                    // 0000000058F0: 809A451A
	v_mfma_scale_f32_16x16x128_f8f6f4 a[116:119], v[144:147], v[132:135], a[116:119], v208, v207 op_sel_hi:[0,0,0] cbsz:4 blgp:4// 0000000058F4: D3AC7000 18039FD0 D3AD8C74 85D30990
	s_addk_i32 s60, 0x100                                      // 000000005904: B73C0100
	ds_read_b128 v[28:31], v221 offset:4736                    // 000000005908: D9FE1280 1C0000DD
	v_mfma_scale_f32_16x16x128_f8f6f4 a[120:123], v[148:151], v[128:131], a[120:123], v208, v207 op_sel_hi:[0,0,0] cbsz:4 blgp:4// 000000005910: D3AC6800 18039FD0 D3AD8C78 85E30194
	s_cmp_lt_i32 s60, s61                                      // 000000005920: BF043D3C
	v_mfma_scale_f32_16x16x128_f8f6f4 a[124:127], v[148:151], v[132:135], a[124:127], v208, v207 op_sel_hi:[0,0,0] cbsz:4 blgp:4// 000000005924: D3AC7800 18039FD0 D3AD8C7C 85F30994
	ds_read_b128 v[36:39], v221 offset:4800                    // 000000005934: D9FE12C0 240000DD
	ds_read_b32 v201, v226 offset:2304                         // 00000000593C: D86C0900 C90000E2
	s_cbranch_scc0 label_1040                                  // 000000005944: BF8404EE
	s_waitcnt vmcnt(30) lgkmcnt(5)                             // 000000005948: BF8C457E
	s_barrier                                                  // 00000000594C: BF8A0000
	v_mfma_scale_f32_16x16x128_f8f6f4 a[0:3], v[152:155], v[8:11], a[0:3], v209, v200 op_sel_hi:[0,0,0] cbsz:4 blgp:4// 000000005950: D3AC6000 000391D1 D3AD8C00 84021198
	s_add_u32 m0, 0, s65                                       // 000000005960: 807C4180
	buffer_load_dword v224, s[20:23], 0 offen lds              // 000000005964: E0511000 800500E0
	v_mfma_scale_f32_16x16x128_f8f6f4 a[4:7], v[152:155], v[12:15], a[4:7], v209, v200 op_sel_hi:[0,0,0] cbsz:4 blgp:4// 00000000596C: D3AC7000 000391D1 D3AD8C04 84121998
	ds_read_b128 v[40:43], v221 offset:8448                    // 00000000597C: D9FE2100 280000DD
	v_mfma_scale_f32_16x16x128_f8f6f4 a[8:11], v[156:159], v[8:11], a[8:11], v209, v200 op_sel_hi:[0,0,0] cbsz:4 blgp:4// 000000005984: D3AC6800 000391D1 D3AD8C08 8422119C
	v_mfma_scale_f32_16x16x128_f8f6f4 a[12:15], v[156:159], v[12:15], a[12:15], v209, v200 op_sel_hi:[0,0,0] cbsz:4 blgp:4// 000000005994: D3AC7800 000391D1 D3AD8C0C 8432199C
	ds_read_b128 v[48:51], v221 offset:8512                    // 0000000059A4: D9FE2140 300000DD
	v_mfma_scale_f32_16x16x128_f8f6f4 a[0:3], v[160:163], v[16:19], a[0:3], v209, v200 op_sel_hi:[0,0,0] cbsz:4 blgp:4// 0000000059AC: D3AC6000 180391D1 D3AD8C00 840221A0
	s_add_u32 m0, 0x400, s65                                   // 0000000059BC: 807C41FF 00000400
	buffer_load_dword v225, s[20:23], 0 offen lds              // 0000000059C4: E0511000 800500E1
	v_mfma_scale_f32_16x16x128_f8f6f4 a[4:7], v[160:163], v[20:23], a[4:7], v209, v200 op_sel_hi:[0,0,0] cbsz:4 blgp:4// 0000000059CC: D3AC7000 180391D1 D3AD8C04 841229A0
	ds_read_b128 v[44:47], v221 offset:8960                    // 0000000059DC: D9FE2300 2C0000DD
	v_mfma_scale_f32_16x16x128_f8f6f4 a[8:11], v[164:167], v[16:19], a[8:11], v209, v200 op_sel_hi:[0,0,0] cbsz:4 blgp:4// 0000000059E4: D3AC6800 180391D1 D3AD8C08 842221A4
	v_mfma_scale_f32_16x16x128_f8f6f4 a[12:15], v[164:167], v[20:23], a[12:15], v209, v200 op_sel_hi:[0,0,0] cbsz:4 blgp:4// 0000000059F4: D3AC7800 180391D1 D3AD8C0C 843229A4
	ds_read_b128 v[52:55], v221 offset:9024                    // 000000005A04: D9FE2340 340000DD
	ds_read_b32 v202, v226 offset:2560                         // 000000005A0C: D86C0A00 CA0000E2
	s_waitcnt lgkmcnt(5)                                       // 000000005A14: BF8CC57F
	v_mfma_scale_f32_16x16x128_f8f6f4 a[16:19], v[152:155], v[24:27], a[16:19], v209, v201 op_sel_hi:[0,0,0] cbsz:4 blgp:4// 000000005A18: D3AC6000 000393D1 D3AD8C10 84423198
	s_add_u32 m0, 0, s64                                       // 000000005A28: 807C4080
	buffer_load_dwordx4 v212, s[12:15], 0 offen lds            // 000000005A2C: E05D1000 800300D4
	v_mfma_scale_f32_16x16x128_f8f6f4 a[20:23], v[152:155], v[28:31], a[20:23], v209, v201 op_sel_hi:[0,0,0] cbsz:4 blgp:4// 000000005A34: D3AC7000 000393D1 D3AD8C14 84523998
	ds_read_b128 v[56:59], v221 offset:12672                   // 000000005A44: D9FE3180 380000DD
	v_mfma_scale_f32_16x16x128_f8f6f4 a[24:27], v[156:159], v[24:27], a[24:27], v209, v201 op_sel_hi:[0,0,0] cbsz:4 blgp:4// 000000005A4C: D3AC6800 000393D1 D3AD8C18 8462319C
	v_mfma_scale_f32_16x16x128_f8f6f4 a[28:31], v[156:159], v[28:31], a[28:31], v209, v201 op_sel_hi:[0,0,0] cbsz:4 blgp:4// 000000005A5C: D3AC7800 000393D1 D3AD8C1C 8472399C
	ds_read_b128 v[64:67], v221 offset:12736                   // 000000005A6C: D9FE31C0 400000DD
	v_mfma_scale_f32_16x16x128_f8f6f4 a[16:19], v[160:163], v[32:35], a[16:19], v209, v201 op_sel_hi:[0,0,0] cbsz:4 blgp:4// 000000005A74: D3AC6000 180393D1 D3AD8C10 844241A0
	s_add_u32 m0, 0x1080, s64                                  // 000000005A84: 807C40FF 00001080
	buffer_load_dwordx4 v213, s[12:15], 0 offen lds            // 000000005A8C: E05D1000 800300D5
	v_mfma_scale_f32_16x16x128_f8f6f4 a[20:23], v[160:163], v[36:39], a[20:23], v209, v201 op_sel_hi:[0,0,0] cbsz:4 blgp:4// 000000005A94: D3AC7000 180393D1 D3AD8C14 845249A0
	ds_read_b128 v[60:63], v221 offset:13184                   // 000000005AA4: D9FE3380 3C0000DD
	v_mfma_scale_f32_16x16x128_f8f6f4 a[24:27], v[164:167], v[32:35], a[24:27], v209, v201 op_sel_hi:[0,0,0] cbsz:4 blgp:4// 000000005AAC: D3AC6800 180393D1 D3AD8C18 846241A4
	v_mfma_scale_f32_16x16x128_f8f6f4 a[28:31], v[164:167], v[36:39], a[28:31], v209, v201 op_sel_hi:[0,0,0] cbsz:4 blgp:4// 000000005ABC: D3AC7800 180393D1 D3AD8C1C 847249A4
	ds_read_b128 v[68:71], v221 offset:13248                   // 000000005ACC: D9FE33C0 440000DD
	ds_read_b32 v203, v226 offset:2816                         // 000000005AD4: D86C0B00 CB0000E2
	s_waitcnt lgkmcnt(5)                                       // 000000005ADC: BF8CC57F
	v_mfma_scale_f32_16x16x128_f8f6f4 a[32:35], v[152:155], v[40:43], a[32:35], v209, v202 op_sel_hi:[0,0,0] cbsz:4 blgp:4// 000000005AE0: D3AC6000 000395D1 D3AD8C20 84825198
	s_add_u32 m0, 0x2100, s64                                  // 000000005AF0: 807C40FF 00002100
	buffer_load_dwordx4 v214, s[12:15], 0 offen lds            // 000000005AF8: E05D1000 800300D6
	v_mfma_scale_f32_16x16x128_f8f6f4 a[36:39], v[152:155], v[44:47], a[36:39], v209, v202 op_sel_hi:[0,0,0] cbsz:4 blgp:4// 000000005B00: D3AC7000 000395D1 D3AD8C24 84925998
	ds_read_b128 v[72:75], v221 offset:16896                   // 000000005B10: D9FE4200 480000DD
	v_mfma_scale_f32_16x16x128_f8f6f4 a[40:43], v[156:159], v[40:43], a[40:43], v209, v202 op_sel_hi:[0,0,0] cbsz:4 blgp:4// 000000005B18: D3AC6800 000395D1 D3AD8C28 84A2519C
	v_mfma_scale_f32_16x16x128_f8f6f4 a[44:47], v[156:159], v[44:47], a[44:47], v209, v202 op_sel_hi:[0,0,0] cbsz:4 blgp:4// 000000005B28: D3AC7800 000395D1 D3AD8C2C 84B2599C
	ds_read_b128 v[80:83], v221 offset:16960                   // 000000005B38: D9FE4240 500000DD
	v_mfma_scale_f32_16x16x128_f8f6f4 a[32:35], v[160:163], v[48:51], a[32:35], v209, v202 op_sel_hi:[0,0,0] cbsz:4 blgp:4// 000000005B40: D3AC6000 180395D1 D3AD8C20 848261A0
	s_add_u32 m0, 0x3180, s64                                  // 000000005B50: 807C40FF 00003180
	buffer_load_dwordx4 v215, s[12:15], 0 offen lds            // 000000005B58: E05D1000 800300D7
	v_mfma_scale_f32_16x16x128_f8f6f4 a[36:39], v[160:163], v[52:55], a[36:39], v209, v202 op_sel_hi:[0,0,0] cbsz:4 blgp:4// 000000005B60: D3AC7000 180395D1 D3AD8C24 849269A0
	ds_read_b128 v[76:79], v221 offset:17408                   // 000000005B70: D9FE4400 4C0000DD
	v_mfma_scale_f32_16x16x128_f8f6f4 a[40:43], v[164:167], v[48:51], a[40:43], v209, v202 op_sel_hi:[0,0,0] cbsz:4 blgp:4// 000000005B78: D3AC6800 180395D1 D3AD8C28 84A261A4
	v_mfma_scale_f32_16x16x128_f8f6f4 a[44:47], v[164:167], v[52:55], a[44:47], v209, v202 op_sel_hi:[0,0,0] cbsz:4 blgp:4// 000000005B88: D3AC7800 180395D1 D3AD8C2C 84B269A4
	ds_read_b128 v[84:87], v221 offset:17472                   // 000000005B98: D9FE4440 540000DD
	ds_read_b32 v204, v226 offset:3072                         // 000000005BA0: D86C0C00 CC0000E2
	s_waitcnt lgkmcnt(5)                                       // 000000005BA8: BF8CC57F
	v_mfma_scale_f32_16x16x128_f8f6f4 a[48:51], v[152:155], v[56:59], a[48:51], v209, v203 op_sel_hi:[0,0,0] cbsz:4 blgp:4// 000000005BAC: D3AC6000 000397D1 D3AD8C30 84C27198
	s_add_u32 m0, 0x4200, s64                                  // 000000005BBC: 807C40FF 00004200
	buffer_load_dwordx4 v216, s[12:15], 0 offen lds            // 000000005BC4: E05D1000 800300D8
	v_mfma_scale_f32_16x16x128_f8f6f4 a[52:55], v[152:155], v[60:63], a[52:55], v209, v203 op_sel_hi:[0,0,0] cbsz:4 blgp:4// 000000005BCC: D3AC7000 000397D1 D3AD8C34 84D27998
	ds_read_b128 v[88:91], v221 offset:21120                   // 000000005BDC: D9FE5280 580000DD
	v_mfma_scale_f32_16x16x128_f8f6f4 a[56:59], v[156:159], v[56:59], a[56:59], v209, v203 op_sel_hi:[0,0,0] cbsz:4 blgp:4// 000000005BE4: D3AC6800 000397D1 D3AD8C38 84E2719C
	v_mfma_scale_f32_16x16x128_f8f6f4 a[60:63], v[156:159], v[60:63], a[60:63], v209, v203 op_sel_hi:[0,0,0] cbsz:4 blgp:4// 000000005BF4: D3AC7800 000397D1 D3AD8C3C 84F2799C
	ds_read_b128 v[96:99], v221 offset:21184                   // 000000005C04: D9FE52C0 600000DD
	v_mfma_scale_f32_16x16x128_f8f6f4 a[48:51], v[160:163], v[64:67], a[48:51], v209, v203 op_sel_hi:[0,0,0] cbsz:4 blgp:4// 000000005C0C: D3AC6000 180397D1 D3AD8C30 84C281A0
	s_add_u32 m0, 0x5280, s64                                  // 000000005C1C: 807C40FF 00005280
	buffer_load_dwordx4 v217, s[12:15], 0 offen lds            // 000000005C24: E05D1000 800300D9
	v_mfma_scale_f32_16x16x128_f8f6f4 a[52:55], v[160:163], v[68:71], a[52:55], v209, v203 op_sel_hi:[0,0,0] cbsz:4 blgp:4// 000000005C2C: D3AC7000 180397D1 D3AD8C34 84D289A0
	ds_read_b128 v[92:95], v221 offset:21632                   // 000000005C3C: D9FE5480 5C0000DD
	v_mfma_scale_f32_16x16x128_f8f6f4 a[56:59], v[164:167], v[64:67], a[56:59], v209, v203 op_sel_hi:[0,0,0] cbsz:4 blgp:4// 000000005C44: D3AC6800 180397D1 D3AD8C38 84E281A4
	v_mfma_scale_f32_16x16x128_f8f6f4 a[60:63], v[164:167], v[68:71], a[60:63], v209, v203 op_sel_hi:[0,0,0] cbsz:4 blgp:4// 000000005C54: D3AC7800 180397D1 D3AD8C3C 84F289A4
	ds_read_b128 v[100:103], v221 offset:21696                 // 000000005C64: D9FE54C0 640000DD
	ds_read_b32 v205, v226 offset:3328                         // 000000005C6C: D86C0D00 CD0000E2
	s_waitcnt lgkmcnt(5)                                       // 000000005C74: BF8CC57F
	v_mfma_scale_f32_16x16x128_f8f6f4 a[64:67], v[152:155], v[72:75], a[64:67], v209, v204 op_sel_hi:[0,0,0] cbsz:4 blgp:4// 000000005C78: D3AC6000 000399D1 D3AD8C40 85029198
	s_add_u32 m0, 0x6300, s64                                  // 000000005C88: 807C40FF 00006300
	buffer_load_dwordx4 v218, s[12:15], 0 offen lds            // 000000005C90: E05D1000 800300DA
	v_mfma_scale_f32_16x16x128_f8f6f4 a[68:71], v[152:155], v[76:79], a[68:71], v209, v204 op_sel_hi:[0,0,0] cbsz:4 blgp:4// 000000005C98: D3AC7000 000399D1 D3AD8C44 85129998
	ds_read_b128 v[104:107], v221 offset:25344                 // 000000005CA8: D9FE6300 680000DD
	v_mfma_scale_f32_16x16x128_f8f6f4 a[72:75], v[156:159], v[72:75], a[72:75], v209, v204 op_sel_hi:[0,0,0] cbsz:4 blgp:4// 000000005CB0: D3AC6800 000399D1 D3AD8C48 8522919C
	v_mfma_scale_f32_16x16x128_f8f6f4 a[76:79], v[156:159], v[76:79], a[76:79], v209, v204 op_sel_hi:[0,0,0] cbsz:4 blgp:4// 000000005CC0: D3AC7800 000399D1 D3AD8C4C 8532999C
	ds_read_b128 v[112:115], v221 offset:25408                 // 000000005CD0: D9FE6340 700000DD
	v_mfma_scale_f32_16x16x128_f8f6f4 a[64:67], v[160:163], v[80:83], a[64:67], v209, v204 op_sel_hi:[0,0,0] cbsz:4 blgp:4// 000000005CD8: D3AC6000 180399D1 D3AD8C40 8502A1A0
	s_add_u32 m0, 0x7380, s64                                  // 000000005CE8: 807C40FF 00007380
	buffer_load_dwordx4 v219, s[12:15], 0 offen lds            // 000000005CF0: E05D1000 800300DB
	v_mfma_scale_f32_16x16x128_f8f6f4 a[68:71], v[160:163], v[84:87], a[68:71], v209, v204 op_sel_hi:[0,0,0] cbsz:4 blgp:4// 000000005CF8: D3AC7000 180399D1 D3AD8C44 8512A9A0
	s_add_u32 s62, 0x400, s60                                  // 000000005D08: 803E3CFF 00000400
	ds_read_b128 v[108:111], v221 offset:25856                 // 000000005D10: D9FE6500 6C0000DD
	v_mfma_scale_f32_16x16x128_f8f6f4 a[72:75], v[164:167], v[80:83], a[72:75], v209, v204 op_sel_hi:[0,0,0] cbsz:4 blgp:4// 000000005D18: D3AC6800 180399D1 D3AD8C48 8522A1A4
	s_cmp_lt_u32 s62, s61                                      // 000000005D28: BF0A3D3E
	s_cselect_b32 s66, s66, 0                                  // 000000005D2C: 85428042
	v_mfma_scale_f32_16x16x128_f8f6f4 a[76:79], v[164:167], v[84:87], a[76:79], v209, v204 op_sel_hi:[0,0,0] cbsz:4 blgp:4// 000000005D30: D3AC7800 180399D1 D3AD8C4C 8532A9A4
	s_cselect_b32 s68, s68, 0                                  // 000000005D40: 85448044
	ds_read_b128 v[116:119], v221 offset:25920                 // 000000005D44: D9FE6540 740000DD
	ds_read_b32 v206, v226 offset:3584                         // 000000005D4C: D86C0E00 CE0000E2
	s_waitcnt lgkmcnt(5)                                       // 000000005D54: BF8CC57F
	v_mfma_scale_f32_16x16x128_f8f6f4 a[80:83], v[152:155], v[88:91], a[80:83], v209, v205 op_sel_hi:[0,0,0] cbsz:4 blgp:4// 000000005D58: D3AC6000 00039BD1 D3AD8C50 8542B198
	s_add_u32 s12, s12, s66                                    // 000000005D68: 800C420C
	buffer_load_dwordx4 v[136:139], v227, s[16:19], 0 offen    // 000000005D6C: E05C1000 800488E3
	v_mfma_scale_f32_16x16x128_f8f6f4 a[84:87], v[152:155], v[92:95], a[84:87], v209, v205 op_sel_hi:[0,0,0] cbsz:4 blgp:4// 000000005D74: D3AC7000 00039BD1 D3AD8C54 8552B998
	s_addc_u32 s13, 0, s13                                     // 000000005D84: 820D0D80
	ds_read_b128 v[120:123], v221 offset:29568                 // 000000005D88: D9FE7380 780000DD
	v_mfma_scale_f32_16x16x128_f8f6f4 a[88:91], v[156:159], v[88:91], a[88:91], v209, v205 op_sel_hi:[0,0,0] cbsz:4 blgp:4// 000000005D90: D3AC6800 00039BD1 D3AD8C58 8562B19C
	s_sub_u32 s14, s14, s66                                    // 000000005DA0: 808E420E
	s_add_u32 s20, s20, s68                                    // 000000005DA4: 80144414
	v_mfma_scale_f32_16x16x128_f8f6f4 a[92:95], v[156:159], v[92:95], a[92:95], v209, v205 op_sel_hi:[0,0,0] cbsz:4 blgp:4// 000000005DA8: D3AC7800 00039BD1 D3AD8C5C 8572B99C
	s_addc_u32 s21, 0, s21                                     // 000000005DB8: 82151580
	ds_read_b128 v[128:131], v221 offset:29632                 // 000000005DBC: D9FE73C0 800000DD
	v_mfma_scale_f32_16x16x128_f8f6f4 a[80:83], v[160:163], v[96:99], a[80:83], v209, v205 op_sel_hi:[0,0,0] cbsz:4 blgp:4// 000000005DC4: D3AC6000 18039BD1 D3AD8C50 8542C1A0
	s_sub_u32 s22, s22, s68                                    // 000000005DD4: 80964416
	buffer_load_dwordx4 v[140:143], v228, s[16:19], 0 offen    // 000000005DD8: E05C1000 80048CE4
	v_mfma_scale_f32_16x16x128_f8f6f4 a[84:87], v[160:163], v[100:103], a[84:87], v209, v205 op_sel_hi:[0,0,0] cbsz:4 blgp:4// 000000005DE0: D3AC7000 18039BD1 D3AD8C54 8552C9A0
	s_add_u32 s63, 0x400, s60                                  // 000000005DF0: 803F3CFF 00000400
	ds_read_b128 v[124:127], v221 offset:30080                 // 000000005DF8: D9FE7580 7C0000DD
	v_mfma_scale_f32_16x16x128_f8f6f4 a[88:91], v[164:167], v[96:99], a[88:91], v209, v205 op_sel_hi:[0,0,0] cbsz:4 blgp:4// 000000005E00: D3AC6800 18039BD1 D3AD8C58 8562C1A4
	s_cmp_lt_u32 s63, s61                                      // 000000005E10: BF0A3D3F
	s_cselect_b32 s67, s67, 0                                  // 000000005E14: 85438043
	v_mfma_scale_f32_16x16x128_f8f6f4 a[92:95], v[164:167], v[100:103], a[92:95], v209, v205 op_sel_hi:[0,0,0] cbsz:4 blgp:4// 000000005E18: D3AC7800 18039BD1 D3AD8C5C 8572C9A4
	s_cselect_b32 s69, s69, 0                                  // 000000005E28: 85458045
	ds_read_b128 v[132:135], v221 offset:30144                 // 000000005E2C: D9FE75C0 840000DD
	ds_read_b32 v207, v226 offset:3840                         // 000000005E34: D86C0F00 CF0000E2
	s_waitcnt vmcnt(38) lgkmcnt(5)                             // 000000005E3C: BF8C8576
	s_barrier                                                  // 000000005E40: BF8A0000
	v_mfma_scale_f32_16x16x128_f8f6f4 a[96:99], v[152:155], v[104:107], a[96:99], v209, v206 op_sel_hi:[0,0,0] cbsz:4 blgp:4// 000000005E44: D3AC6000 00039DD1 D3AD8C60 8582D198
	buffer_load_dwordx4 v[144:147], v227, s[16:19], 0 offen offset:1024// 000000005E54: E05C1400 800490E3
	v_mfma_scale_f32_16x16x128_f8f6f4 a[100:103], v[152:155], v[108:111], a[100:103], v209, v206 op_sel_hi:[0,0,0] cbsz:4 blgp:4// 000000005E5C: D3AC7000 00039DD1 D3AD8C64 8592D998
	ds_read_b128 v[8:11], v222                                 // 000000005E6C: D9FE0000 080000DE
	v_mfma_scale_f32_16x16x128_f8f6f4 a[104:107], v[156:159], v[104:107], a[104:107], v209, v206 op_sel_hi:[0,0,0] cbsz:4 blgp:4// 000000005E74: D3AC6800 00039DD1 D3AD8C68 85A2D19C
	v_mfma_scale_f32_16x16x128_f8f6f4 a[108:111], v[156:159], v[108:111], a[108:111], v209, v206 op_sel_hi:[0,0,0] cbsz:4 blgp:4// 000000005E84: D3AC7800 00039DD1 D3AD8C6C 85B2D99C
	ds_read_b128 v[16:19], v222 offset:64                      // 000000005E94: D9FE0040 100000DE
	v_mfma_scale_f32_16x16x128_f8f6f4 a[96:99], v[160:163], v[112:115], a[96:99], v209, v206 op_sel_hi:[0,0,0] cbsz:4 blgp:4// 000000005E9C: D3AC6000 18039DD1 D3AD8C60 8582E1A0
	buffer_load_dwordx4 v[148:151], v228, s[16:19], 0 offen offset:1024// 000000005EAC: E05C1400 800494E4
	v_mfma_scale_f32_16x16x128_f8f6f4 a[100:103], v[160:163], v[116:119], a[100:103], v209, v206 op_sel_hi:[0,0,0] cbsz:4 blgp:4// 000000005EB4: D3AC7000 18039DD1 D3AD8C64 8592E9A0
	ds_read_b128 v[12:15], v222 offset:512                     // 000000005EC4: D9FE0200 0C0000DE
	v_mfma_scale_f32_16x16x128_f8f6f4 a[104:107], v[164:167], v[112:115], a[104:107], v209, v206 op_sel_hi:[0,0,0] cbsz:4 blgp:4// 000000005ECC: D3AC6800 18039DD1 D3AD8C68 85A2E1A4
	v_mfma_scale_f32_16x16x128_f8f6f4 a[108:111], v[164:167], v[116:119], a[108:111], v209, v206 op_sel_hi:[0,0,0] cbsz:4 blgp:4// 000000005EDC: D3AC7800 18039DD1 D3AD8C6C 85B2E9A4
	ds_read_b128 v[20:23], v222 offset:576                     // 000000005EEC: D9FE0240 140000DE
	ds_read_b32 v200, v226 offset:4096                         // 000000005EF4: D86C1000 C80000E2
	s_waitcnt lgkmcnt(5)                                       // 000000005EFC: BF8CC57F
	v_mfma_scale_f32_16x16x128_f8f6f4 a[112:115], v[152:155], v[120:123], a[112:115], v209, v207 op_sel_hi:[0,0,0] cbsz:4 blgp:4// 000000005F00: D3AC6000 00039FD1 D3AD8C70 85C2F198
	buffer_load_dword v208, v229, s[24:27], 0 offen            // 000000005F10: E0501000 8006D0E5
	v_mfma_scale_f32_16x16x128_f8f6f4 a[116:119], v[152:155], v[124:127], a[116:119], v209, v207 op_sel_hi:[0,0,0] cbsz:4 blgp:4// 000000005F18: D3AC7000 00039FD1 D3AD8C74 85D2F998
	s_add_u32 s16, s16, s67                                    // 000000005F28: 80104310
	ds_read_b128 v[24:27], v222 offset:4224                    // 000000005F2C: D9FE1080 180000DE
	v_mfma_scale_f32_16x16x128_f8f6f4 a[120:123], v[156:159], v[120:123], a[120:123], v209, v207 op_sel_hi:[0,0,0] cbsz:4 blgp:4// 000000005F34: D3AC6800 00039FD1 D3AD8C78 85E2F19C
	s_addc_u32 s17, 0, s17                                     // 000000005F44: 82111180
	s_sub_u32 s18, s18, s67                                    // 000000005F48: 80924312
	v_mfma_scale_f32_16x16x128_f8f6f4 a[124:127], v[156:159], v[124:127], a[124:127], v209, v207 op_sel_hi:[0,0,0] cbsz:4 blgp:4// 000000005F4C: D3AC7800 00039FD1 D3AD8C7C 85F2F99C
	s_add_u32 s24, s24, s69                                    // 000000005F5C: 80184518
	ds_read_b128 v[32:35], v222 offset:4288                    // 000000005F60: D9FE10C0 200000DE
	v_mfma_scale_f32_16x16x128_f8f6f4 a[112:115], v[160:163], v[128:131], a[112:115], v209, v207 op_sel_hi:[0,0,0] cbsz:4 blgp:4// 000000005F68: D3AC6000 18039FD1 D3AD8C70 85C301A0
	s_addc_u32 s25, 0, s25                                     // 000000005F78: 82191980
	s_sub_u32 s26, s26, s69                                    // 000000005F7C: 809A451A
	v_mfma_scale_f32_16x16x128_f8f6f4 a[116:119], v[160:163], v[132:135], a[116:119], v209, v207 op_sel_hi:[0,0,0] cbsz:4 blgp:4// 000000005F80: D3AC7000 18039FD1 D3AD8C74 85D309A0
	s_addk_i32 s60, 0x100                                      // 000000005F90: B73C0100
	ds_read_b128 v[28:31], v222 offset:4736                    // 000000005F94: D9FE1280 1C0000DE
	v_mfma_scale_f32_16x16x128_f8f6f4 a[120:123], v[164:167], v[128:131], a[120:123], v209, v207 op_sel_hi:[0,0,0] cbsz:4 blgp:4// 000000005F9C: D3AC6800 18039FD1 D3AD8C78 85E301A4
	s_cmp_lt_i32 s60, s61                                      // 000000005FAC: BF043D3C
	v_mfma_scale_f32_16x16x128_f8f6f4 a[124:127], v[164:167], v[132:135], a[124:127], v209, v207 op_sel_hi:[0,0,0] cbsz:4 blgp:4// 000000005FB0: D3AC7800 18039FD1 D3AD8C7C 85F309A4
	ds_read_b128 v[36:39], v222 offset:4800                    // 000000005FC0: D9FE12C0 240000DE
	ds_read_b32 v201, v226 offset:4352                         // 000000005FC8: D86C1100 C90000E2
	s_cbranch_scc0 label_1040                                  // 000000005FD0: BF84034B
	s_waitcnt vmcnt(30) lgkmcnt(5)                             // 000000005FD4: BF8C457E
	s_barrier                                                  // 000000005FD8: BF8A0000
	v_mfma_scale_f32_16x16x128_f8f6f4 a[0:3], v[168:171], v[8:11], a[0:3], v210, v200 op_sel_hi:[0,0,0] cbsz:4 blgp:4// 000000005FDC: D3AC6000 000391D2 D3AD8C00 840211A8
	s_add_u32 m0, 0x800, s65                                   // 000000005FEC: 807C41FF 00000800
	buffer_load_dword v224, s[20:23], 0 offen lds              // 000000005FF4: E0511000 800500E0
	v_mfma_scale_f32_16x16x128_f8f6f4 a[4:7], v[168:171], v[12:15], a[4:7], v210, v200 op_sel_hi:[0,0,0] cbsz:4 blgp:4// 000000005FFC: D3AC7000 000391D2 D3AD8C04 841219A8
	ds_read_b128 v[40:43], v222 offset:8448                    // 00000000600C: D9FE2100 280000DE
	v_mfma_scale_f32_16x16x128_f8f6f4 a[8:11], v[172:175], v[8:11], a[8:11], v210, v200 op_sel_hi:[0,0,0] cbsz:4 blgp:4// 000000006014: D3AC6800 000391D2 D3AD8C08 842211AC
	v_mfma_scale_f32_16x16x128_f8f6f4 a[12:15], v[172:175], v[12:15], a[12:15], v210, v200 op_sel_hi:[0,0,0] cbsz:4 blgp:4// 000000006024: D3AC7800 000391D2 D3AD8C0C 843219AC
	ds_read_b128 v[48:51], v222 offset:8512                    // 000000006034: D9FE2140 300000DE
	v_mfma_scale_f32_16x16x128_f8f6f4 a[0:3], v[176:179], v[16:19], a[0:3], v210, v200 op_sel_hi:[0,0,0] cbsz:4 blgp:4// 00000000603C: D3AC6000 180391D2 D3AD8C00 840221B0
	s_add_u32 m0, 0xc00, s65                                   // 00000000604C: 807C41FF 00000C00
	buffer_load_dword v225, s[20:23], 0 offen lds              // 000000006054: E0511000 800500E1
	v_mfma_scale_f32_16x16x128_f8f6f4 a[4:7], v[176:179], v[20:23], a[4:7], v210, v200 op_sel_hi:[0,0,0] cbsz:4 blgp:4// 00000000605C: D3AC7000 180391D2 D3AD8C04 841229B0
	ds_read_b128 v[44:47], v222 offset:8960                    // 00000000606C: D9FE2300 2C0000DE
	v_mfma_scale_f32_16x16x128_f8f6f4 a[8:11], v[180:183], v[16:19], a[8:11], v210, v200 op_sel_hi:[0,0,0] cbsz:4 blgp:4// 000000006074: D3AC6800 180391D2 D3AD8C08 842221B4
	v_mfma_scale_f32_16x16x128_f8f6f4 a[12:15], v[180:183], v[20:23], a[12:15], v210, v200 op_sel_hi:[0,0,0] cbsz:4 blgp:4// 000000006084: D3AC7800 180391D2 D3AD8C0C 843229B4
	ds_read_b128 v[52:55], v222 offset:9024                    // 000000006094: D9FE2340 340000DE
	ds_read_b32 v202, v226 offset:4608                         // 00000000609C: D86C1200 CA0000E2
	s_waitcnt lgkmcnt(5)                                       // 0000000060A4: BF8CC57F
	v_mfma_scale_f32_16x16x128_f8f6f4 a[16:19], v[168:171], v[24:27], a[16:19], v210, v201 op_sel_hi:[0,0,0] cbsz:4 blgp:4// 0000000060A8: D3AC6000 000393D2 D3AD8C10 844231A8
	s_add_u32 m0, 0x8400, s64                                  // 0000000060B8: 807C40FF 00008400
	buffer_load_dwordx4 v212, s[12:15], 0 offen lds            // 0000000060C0: E05D1000 800300D4
	v_mfma_scale_f32_16x16x128_f8f6f4 a[20:23], v[168:171], v[28:31], a[20:23], v210, v201 op_sel_hi:[0,0,0] cbsz:4 blgp:4// 0000000060C8: D3AC7000 000393D2 D3AD8C14 845239A8
	ds_read_b128 v[56:59], v222 offset:12672                   // 0000000060D8: D9FE3180 380000DE
	v_mfma_scale_f32_16x16x128_f8f6f4 a[24:27], v[172:175], v[24:27], a[24:27], v210, v201 op_sel_hi:[0,0,0] cbsz:4 blgp:4// 0000000060E0: D3AC6800 000393D2 D3AD8C18 846231AC
	v_mfma_scale_f32_16x16x128_f8f6f4 a[28:31], v[172:175], v[28:31], a[28:31], v210, v201 op_sel_hi:[0,0,0] cbsz:4 blgp:4// 0000000060F0: D3AC7800 000393D2 D3AD8C1C 847239AC
	ds_read_b128 v[64:67], v222 offset:12736                   // 000000006100: D9FE31C0 400000DE
	v_mfma_scale_f32_16x16x128_f8f6f4 a[16:19], v[176:179], v[32:35], a[16:19], v210, v201 op_sel_hi:[0,0,0] cbsz:4 blgp:4// 000000006108: D3AC6000 180393D2 D3AD8C10 844241B0
	s_add_u32 m0, 0x9480, s64                                  // 000000006118: 807C40FF 00009480
	buffer_load_dwordx4 v213, s[12:15], 0 offen lds            // 000000006120: E05D1000 800300D5
	v_mfma_scale_f32_16x16x128_f8f6f4 a[20:23], v[176:179], v[36:39], a[20:23], v210, v201 op_sel_hi:[0,0,0] cbsz:4 blgp:4// 000000006128: D3AC7000 180393D2 D3AD8C14 845249B0
	ds_read_b128 v[60:63], v222 offset:13184                   // 000000006138: D9FE3380 3C0000DE
	v_mfma_scale_f32_16x16x128_f8f6f4 a[24:27], v[180:183], v[32:35], a[24:27], v210, v201 op_sel_hi:[0,0,0] cbsz:4 blgp:4// 000000006140: D3AC6800 180393D2 D3AD8C18 846241B4
	v_mfma_scale_f32_16x16x128_f8f6f4 a[28:31], v[180:183], v[36:39], a[28:31], v210, v201 op_sel_hi:[0,0,0] cbsz:4 blgp:4// 000000006150: D3AC7800 180393D2 D3AD8C1C 847249B4
	ds_read_b128 v[68:71], v222 offset:13248                   // 000000006160: D9FE33C0 440000DE
	ds_read_b32 v203, v226 offset:4864                         // 000000006168: D86C1300 CB0000E2
	s_waitcnt lgkmcnt(5)                                       // 000000006170: BF8CC57F
	v_mfma_scale_f32_16x16x128_f8f6f4 a[32:35], v[168:171], v[40:43], a[32:35], v210, v202 op_sel_hi:[0,0,0] cbsz:4 blgp:4// 000000006174: D3AC6000 000395D2 D3AD8C20 848251A8
	s_add_u32 m0, 0xa500, s64                                  // 000000006184: 807C40FF 0000A500
	buffer_load_dwordx4 v214, s[12:15], 0 offen lds            // 00000000618C: E05D1000 800300D6
	v_mfma_scale_f32_16x16x128_f8f6f4 a[36:39], v[168:171], v[44:47], a[36:39], v210, v202 op_sel_hi:[0,0,0] cbsz:4 blgp:4// 000000006194: D3AC7000 000395D2 D3AD8C24 849259A8
	ds_read_b128 v[72:75], v222 offset:16896                   // 0000000061A4: D9FE4200 480000DE
	v_mfma_scale_f32_16x16x128_f8f6f4 a[40:43], v[172:175], v[40:43], a[40:43], v210, v202 op_sel_hi:[0,0,0] cbsz:4 blgp:4// 0000000061AC: D3AC6800 000395D2 D3AD8C28 84A251AC
	v_mfma_scale_f32_16x16x128_f8f6f4 a[44:47], v[172:175], v[44:47], a[44:47], v210, v202 op_sel_hi:[0,0,0] cbsz:4 blgp:4// 0000000061BC: D3AC7800 000395D2 D3AD8C2C 84B259AC
	ds_read_b128 v[80:83], v222 offset:16960                   // 0000000061CC: D9FE4240 500000DE
	v_mfma_scale_f32_16x16x128_f8f6f4 a[32:35], v[176:179], v[48:51], a[32:35], v210, v202 op_sel_hi:[0,0,0] cbsz:4 blgp:4// 0000000061D4: D3AC6000 180395D2 D3AD8C20 848261B0
	s_add_u32 m0, 0xb580, s64                                  // 0000000061E4: 807C40FF 0000B580
	buffer_load_dwordx4 v215, s[12:15], 0 offen lds            // 0000000061EC: E05D1000 800300D7
	v_mfma_scale_f32_16x16x128_f8f6f4 a[36:39], v[176:179], v[52:55], a[36:39], v210, v202 op_sel_hi:[0,0,0] cbsz:4 blgp:4// 0000000061F4: D3AC7000 180395D2 D3AD8C24 849269B0
	ds_read_b128 v[76:79], v222 offset:17408                   // 000000006204: D9FE4400 4C0000DE
	v_mfma_scale_f32_16x16x128_f8f6f4 a[40:43], v[180:183], v[48:51], a[40:43], v210, v202 op_sel_hi:[0,0,0] cbsz:4 blgp:4// 00000000620C: D3AC6800 180395D2 D3AD8C28 84A261B4
	v_mfma_scale_f32_16x16x128_f8f6f4 a[44:47], v[180:183], v[52:55], a[44:47], v210, v202 op_sel_hi:[0,0,0] cbsz:4 blgp:4// 00000000621C: D3AC7800 180395D2 D3AD8C2C 84B269B4
	ds_read_b128 v[84:87], v222 offset:17472                   // 00000000622C: D9FE4440 540000DE
	ds_read_b32 v204, v226 offset:5120                         // 000000006234: D86C1400 CC0000E2
	s_waitcnt lgkmcnt(5)                                       // 00000000623C: BF8CC57F
	v_mfma_scale_f32_16x16x128_f8f6f4 a[48:51], v[168:171], v[56:59], a[48:51], v210, v203 op_sel_hi:[0,0,0] cbsz:4 blgp:4// 000000006240: D3AC6000 000397D2 D3AD8C30 84C271A8
	s_add_u32 m0, 0xc600, s64                                  // 000000006250: 807C40FF 0000C600
	buffer_load_dwordx4 v216, s[12:15], 0 offen lds            // 000000006258: E05D1000 800300D8
	v_mfma_scale_f32_16x16x128_f8f6f4 a[52:55], v[168:171], v[60:63], a[52:55], v210, v203 op_sel_hi:[0,0,0] cbsz:4 blgp:4// 000000006260: D3AC7000 000397D2 D3AD8C34 84D279A8
	ds_read_b128 v[88:91], v222 offset:21120                   // 000000006270: D9FE5280 580000DE
	v_mfma_scale_f32_16x16x128_f8f6f4 a[56:59], v[172:175], v[56:59], a[56:59], v210, v203 op_sel_hi:[0,0,0] cbsz:4 blgp:4// 000000006278: D3AC6800 000397D2 D3AD8C38 84E271AC
	v_mfma_scale_f32_16x16x128_f8f6f4 a[60:63], v[172:175], v[60:63], a[60:63], v210, v203 op_sel_hi:[0,0,0] cbsz:4 blgp:4// 000000006288: D3AC7800 000397D2 D3AD8C3C 84F279AC
	ds_read_b128 v[96:99], v222 offset:21184                   // 000000006298: D9FE52C0 600000DE
	v_mfma_scale_f32_16x16x128_f8f6f4 a[48:51], v[176:179], v[64:67], a[48:51], v210, v203 op_sel_hi:[0,0,0] cbsz:4 blgp:4// 0000000062A0: D3AC6000 180397D2 D3AD8C30 84C281B0
	s_add_u32 m0, 0xd680, s64                                  // 0000000062B0: 807C40FF 0000D680
	buffer_load_dwordx4 v217, s[12:15], 0 offen lds            // 0000000062B8: E05D1000 800300D9
	v_mfma_scale_f32_16x16x128_f8f6f4 a[52:55], v[176:179], v[68:71], a[52:55], v210, v203 op_sel_hi:[0,0,0] cbsz:4 blgp:4// 0000000062C0: D3AC7000 180397D2 D3AD8C34 84D289B0
	ds_read_b128 v[92:95], v222 offset:21632                   // 0000000062D0: D9FE5480 5C0000DE
	v_mfma_scale_f32_16x16x128_f8f6f4 a[56:59], v[180:183], v[64:67], a[56:59], v210, v203 op_sel_hi:[0,0,0] cbsz:4 blgp:4// 0000000062D8: D3AC6800 180397D2 D3AD8C38 84E281B4
	v_mfma_scale_f32_16x16x128_f8f6f4 a[60:63], v[180:183], v[68:71], a[60:63], v210, v203 op_sel_hi:[0,0,0] cbsz:4 blgp:4// 0000000062E8: D3AC7800 180397D2 D3AD8C3C 84F289B4
	ds_read_b128 v[100:103], v222 offset:21696                 // 0000000062F8: D9FE54C0 640000DE
	ds_read_b32 v205, v226 offset:5376                         // 000000006300: D86C1500 CD0000E2
	s_waitcnt lgkmcnt(5)                                       // 000000006308: BF8CC57F
	v_mfma_scale_f32_16x16x128_f8f6f4 a[64:67], v[168:171], v[72:75], a[64:67], v210, v204 op_sel_hi:[0,0,0] cbsz:4 blgp:4// 00000000630C: D3AC6000 000399D2 D3AD8C40 850291A8
	s_add_u32 m0, 0xe700, s64                                  // 00000000631C: 807C40FF 0000E700
	buffer_load_dwordx4 v218, s[12:15], 0 offen lds            // 000000006324: E05D1000 800300DA
	v_mfma_scale_f32_16x16x128_f8f6f4 a[68:71], v[168:171], v[76:79], a[68:71], v210, v204 op_sel_hi:[0,0,0] cbsz:4 blgp:4// 00000000632C: D3AC7000 000399D2 D3AD8C44 851299A8
	ds_read_b128 v[104:107], v222 offset:25344                 // 00000000633C: D9FE6300 680000DE
	v_mfma_scale_f32_16x16x128_f8f6f4 a[72:75], v[172:175], v[72:75], a[72:75], v210, v204 op_sel_hi:[0,0,0] cbsz:4 blgp:4// 000000006344: D3AC6800 000399D2 D3AD8C48 852291AC
	v_mfma_scale_f32_16x16x128_f8f6f4 a[76:79], v[172:175], v[76:79], a[76:79], v210, v204 op_sel_hi:[0,0,0] cbsz:4 blgp:4// 000000006354: D3AC7800 000399D2 D3AD8C4C 853299AC
	ds_read_b128 v[112:115], v222 offset:25408                 // 000000006364: D9FE6340 700000DE
	v_mfma_scale_f32_16x16x128_f8f6f4 a[64:67], v[176:179], v[80:83], a[64:67], v210, v204 op_sel_hi:[0,0,0] cbsz:4 blgp:4// 00000000636C: D3AC6000 180399D2 D3AD8C40 8502A1B0
	s_add_u32 m0, 0xf780, s64                                  // 00000000637C: 807C40FF 0000F780
	buffer_load_dwordx4 v219, s[12:15], 0 offen lds            // 000000006384: E05D1000 800300DB
	v_mfma_scale_f32_16x16x128_f8f6f4 a[68:71], v[176:179], v[84:87], a[68:71], v210, v204 op_sel_hi:[0,0,0] cbsz:4 blgp:4// 00000000638C: D3AC7000 180399D2 D3AD8C44 8512A9B0
	s_add_u32 s62, 0x400, s60                                  // 00000000639C: 803E3CFF 00000400
	ds_read_b128 v[108:111], v222 offset:25856                 // 0000000063A4: D9FE6500 6C0000DE
	v_mfma_scale_f32_16x16x128_f8f6f4 a[72:75], v[180:183], v[80:83], a[72:75], v210, v204 op_sel_hi:[0,0,0] cbsz:4 blgp:4// 0000000063AC: D3AC6800 180399D2 D3AD8C48 8522A1B4
	s_cmp_lt_u32 s62, s61                                      // 0000000063BC: BF0A3D3E
	s_cselect_b32 s66, s66, 0                                  // 0000000063C0: 85428042
	v_mfma_scale_f32_16x16x128_f8f6f4 a[76:79], v[180:183], v[84:87], a[76:79], v210, v204 op_sel_hi:[0,0,0] cbsz:4 blgp:4// 0000000063C4: D3AC7800 180399D2 D3AD8C4C 8532A9B4
	s_cselect_b32 s68, s68, 0                                  // 0000000063D4: 85448044
	ds_read_b128 v[116:119], v222 offset:25920                 // 0000000063D8: D9FE6540 740000DE
	ds_read_b32 v206, v226 offset:5632                         // 0000000063E0: D86C1600 CE0000E2
	s_waitcnt lgkmcnt(5)                                       // 0000000063E8: BF8CC57F
	v_mfma_scale_f32_16x16x128_f8f6f4 a[80:83], v[168:171], v[88:91], a[80:83], v210, v205 op_sel_hi:[0,0,0] cbsz:4 blgp:4// 0000000063EC: D3AC6000 00039BD2 D3AD8C50 8542B1A8
	s_add_u32 s12, s12, s66                                    // 0000000063FC: 800C420C
	buffer_load_dwordx4 v[152:155], v227, s[16:19], 0 offen    // 000000006400: E05C1000 800498E3
	v_mfma_scale_f32_16x16x128_f8f6f4 a[84:87], v[168:171], v[92:95], a[84:87], v210, v205 op_sel_hi:[0,0,0] cbsz:4 blgp:4// 000000006408: D3AC7000 00039BD2 D3AD8C54 8552B9A8
	s_addc_u32 s13, 0, s13                                     // 000000006418: 820D0D80
	ds_read_b128 v[120:123], v222 offset:29568                 // 00000000641C: D9FE7380 780000DE
	v_mfma_scale_f32_16x16x128_f8f6f4 a[88:91], v[172:175], v[88:91], a[88:91], v210, v205 op_sel_hi:[0,0,0] cbsz:4 blgp:4// 000000006424: D3AC6800 00039BD2 D3AD8C58 8562B1AC
	s_sub_u32 s14, s14, s66                                    // 000000006434: 808E420E
	s_add_u32 s20, s20, s68                                    // 000000006438: 80144414
	v_mfma_scale_f32_16x16x128_f8f6f4 a[92:95], v[172:175], v[92:95], a[92:95], v210, v205 op_sel_hi:[0,0,0] cbsz:4 blgp:4// 00000000643C: D3AC7800 00039BD2 D3AD8C5C 8572B9AC
	s_addc_u32 s21, 0, s21                                     // 00000000644C: 82151580
	ds_read_b128 v[128:131], v222 offset:29632                 // 000000006450: D9FE73C0 800000DE
	v_mfma_scale_f32_16x16x128_f8f6f4 a[80:83], v[176:179], v[96:99], a[80:83], v210, v205 op_sel_hi:[0,0,0] cbsz:4 blgp:4// 000000006458: D3AC6000 18039BD2 D3AD8C50 8542C1B0
	s_sub_u32 s22, s22, s68                                    // 000000006468: 80964416
	buffer_load_dwordx4 v[156:159], v228, s[16:19], 0 offen    // 00000000646C: E05C1000 80049CE4
	v_mfma_scale_f32_16x16x128_f8f6f4 a[84:87], v[176:179], v[100:103], a[84:87], v210, v205 op_sel_hi:[0,0,0] cbsz:4 blgp:4// 000000006474: D3AC7000 18039BD2 D3AD8C54 8552C9B0
	s_add_u32 s63, 0x400, s60                                  // 000000006484: 803F3CFF 00000400
	ds_read_b128 v[124:127], v222 offset:30080                 // 00000000648C: D9FE7580 7C0000DE
	v_mfma_scale_f32_16x16x128_f8f6f4 a[88:91], v[180:183], v[96:99], a[88:91], v210, v205 op_sel_hi:[0,0,0] cbsz:4 blgp:4// 000000006494: D3AC6800 18039BD2 D3AD8C58 8562C1B4
	s_cmp_lt_u32 s63, s61                                      // 0000000064A4: BF0A3D3F
	s_cselect_b32 s67, s67, 0                                  // 0000000064A8: 85438043
	v_mfma_scale_f32_16x16x128_f8f6f4 a[92:95], v[180:183], v[100:103], a[92:95], v210, v205 op_sel_hi:[0,0,0] cbsz:4 blgp:4// 0000000064AC: D3AC7800 18039BD2 D3AD8C5C 8572C9B4
	s_cselect_b32 s69, s69, 0                                  // 0000000064BC: 85458045
	ds_read_b128 v[132:135], v222 offset:30144                 // 0000000064C0: D9FE75C0 840000DE
	ds_read_b32 v207, v226 offset:5888                         // 0000000064C8: D86C1700 CF0000E2
	s_waitcnt vmcnt(38) lgkmcnt(5)                             // 0000000064D0: BF8C8576
	s_barrier                                                  // 0000000064D4: BF8A0000
	v_mfma_scale_f32_16x16x128_f8f6f4 a[96:99], v[168:171], v[104:107], a[96:99], v210, v206 op_sel_hi:[0,0,0] cbsz:4 blgp:4// 0000000064D8: D3AC6000 00039DD2 D3AD8C60 8582D1A8
	buffer_load_dwordx4 v[160:163], v227, s[16:19], 0 offen offset:1024// 0000000064E8: E05C1400 8004A0E3
	v_mfma_scale_f32_16x16x128_f8f6f4 a[100:103], v[168:171], v[108:111], a[100:103], v210, v206 op_sel_hi:[0,0,0] cbsz:4 blgp:4// 0000000064F0: D3AC7000 00039DD2 D3AD8C64 8592D9A8
	ds_read_b128 v[8:11], v223                                 // 000000006500: D9FE0000 080000DF
	v_mfma_scale_f32_16x16x128_f8f6f4 a[104:107], v[172:175], v[104:107], a[104:107], v210, v206 op_sel_hi:[0,0,0] cbsz:4 blgp:4// 000000006508: D3AC6800 00039DD2 D3AD8C68 85A2D1AC
	v_mfma_scale_f32_16x16x128_f8f6f4 a[108:111], v[172:175], v[108:111], a[108:111], v210, v206 op_sel_hi:[0,0,0] cbsz:4 blgp:4// 000000006518: D3AC7800 00039DD2 D3AD8C6C 85B2D9AC
	ds_read_b128 v[16:19], v223 offset:64                      // 000000006528: D9FE0040 100000DF
	v_mfma_scale_f32_16x16x128_f8f6f4 a[96:99], v[176:179], v[112:115], a[96:99], v210, v206 op_sel_hi:[0,0,0] cbsz:4 blgp:4// 000000006530: D3AC6000 18039DD2 D3AD8C60 8582E1B0
	buffer_load_dwordx4 v[164:167], v228, s[16:19], 0 offen offset:1024// 000000006540: E05C1400 8004A4E4
	v_mfma_scale_f32_16x16x128_f8f6f4 a[100:103], v[176:179], v[116:119], a[100:103], v210, v206 op_sel_hi:[0,0,0] cbsz:4 blgp:4// 000000006548: D3AC7000 18039DD2 D3AD8C64 8592E9B0
	ds_read_b128 v[12:15], v223 offset:512                     // 000000006558: D9FE0200 0C0000DF
	v_mfma_scale_f32_16x16x128_f8f6f4 a[104:107], v[180:183], v[112:115], a[104:107], v210, v206 op_sel_hi:[0,0,0] cbsz:4 blgp:4// 000000006560: D3AC6800 18039DD2 D3AD8C68 85A2E1B4
	v_mfma_scale_f32_16x16x128_f8f6f4 a[108:111], v[180:183], v[116:119], a[108:111], v210, v206 op_sel_hi:[0,0,0] cbsz:4 blgp:4// 000000006570: D3AC7800 18039DD2 D3AD8C6C 85B2E9B4
	ds_read_b128 v[20:23], v223 offset:576                     // 000000006580: D9FE0240 140000DF
	ds_read_b32 v200, v226 offset:6144                         // 000000006588: D86C1800 C80000E2
	s_waitcnt lgkmcnt(5)                                       // 000000006590: BF8CC57F
	v_mfma_scale_f32_16x16x128_f8f6f4 a[112:115], v[168:171], v[120:123], a[112:115], v210, v207 op_sel_hi:[0,0,0] cbsz:4 blgp:4// 000000006594: D3AC6000 00039FD2 D3AD8C70 85C2F1A8
	buffer_load_dword v209, v229, s[24:27], 0 offen            // 0000000065A4: E0501000 8006D1E5
	v_mfma_scale_f32_16x16x128_f8f6f4 a[116:119], v[168:171], v[124:127], a[116:119], v210, v207 op_sel_hi:[0,0,0] cbsz:4 blgp:4// 0000000065AC: D3AC7000 00039FD2 D3AD8C74 85D2F9A8
	s_add_u32 s16, s16, s67                                    // 0000000065BC: 80104310
	ds_read_b128 v[24:27], v223 offset:4224                    // 0000000065C0: D9FE1080 180000DF
	v_mfma_scale_f32_16x16x128_f8f6f4 a[120:123], v[172:175], v[120:123], a[120:123], v210, v207 op_sel_hi:[0,0,0] cbsz:4 blgp:4// 0000000065C8: D3AC6800 00039FD2 D3AD8C78 85E2F1AC
	s_addc_u32 s17, 0, s17                                     // 0000000065D8: 82111180
	s_sub_u32 s18, s18, s67                                    // 0000000065DC: 80924312
	v_mfma_scale_f32_16x16x128_f8f6f4 a[124:127], v[172:175], v[124:127], a[124:127], v210, v207 op_sel_hi:[0,0,0] cbsz:4 blgp:4// 0000000065E0: D3AC7800 00039FD2 D3AD8C7C 85F2F9AC
	s_add_u32 s24, s24, s69                                    // 0000000065F0: 80184518
	ds_read_b128 v[32:35], v223 offset:4288                    // 0000000065F4: D9FE10C0 200000DF
	v_mfma_scale_f32_16x16x128_f8f6f4 a[112:115], v[176:179], v[128:131], a[112:115], v210, v207 op_sel_hi:[0,0,0] cbsz:4 blgp:4// 0000000065FC: D3AC6000 18039FD2 D3AD8C70 85C301B0
	s_addc_u32 s25, 0, s25                                     // 00000000660C: 82191980
	s_sub_u32 s26, s26, s69                                    // 000000006610: 809A451A
	v_mfma_scale_f32_16x16x128_f8f6f4 a[116:119], v[176:179], v[132:135], a[116:119], v210, v207 op_sel_hi:[0,0,0] cbsz:4 blgp:4// 000000006614: D3AC7000 18039FD2 D3AD8C74 85D309B0
	s_addk_i32 s60, 0x100                                      // 000000006624: B73C0100
	ds_read_b128 v[28:31], v223 offset:4736                    // 000000006628: D9FE1280 1C0000DF
	v_mfma_scale_f32_16x16x128_f8f6f4 a[120:123], v[180:183], v[128:131], a[120:123], v210, v207 op_sel_hi:[0,0,0] cbsz:4 blgp:4// 000000006630: D3AC6800 18039FD2 D3AD8C78 85E301B4
	s_cmp_lt_i32 s60, s61                                      // 000000006640: BF043D3C
	v_mfma_scale_f32_16x16x128_f8f6f4 a[124:127], v[180:183], v[132:135], a[124:127], v210, v207 op_sel_hi:[0,0,0] cbsz:4 blgp:4// 000000006644: D3AC7800 18039FD2 D3AD8C7C 85F309B4
	ds_read_b128 v[36:39], v223 offset:4800                    // 000000006654: D9FE12C0 240000DF
	ds_read_b32 v201, v226 offset:6400                         // 00000000665C: D86C1900 C90000E2
	s_cbranch_scc0 label_1040                                  // 000000006664: BF8401A6
	s_waitcnt vmcnt(30) lgkmcnt(5)                             // 000000006668: BF8C457E
	s_barrier                                                  // 00000000666C: BF8A0000
	v_mfma_scale_f32_16x16x128_f8f6f4 a[0:3], v[184:187], v[8:11], a[0:3], v211, v200 op_sel_hi:[0,0,0] cbsz:4 blgp:4// 000000006670: D3AC6000 000391D3 D3AD8C00 840211B8
	s_add_u32 m0, 0x1000, s65                                  // 000000006680: 807C41FF 00001000
	buffer_load_dword v224, s[20:23], 0 offen lds              // 000000006688: E0511000 800500E0
	v_mfma_scale_f32_16x16x128_f8f6f4 a[4:7], v[184:187], v[12:15], a[4:7], v211, v200 op_sel_hi:[0,0,0] cbsz:4 blgp:4// 000000006690: D3AC7000 000391D3 D3AD8C04 841219B8
	ds_read_b128 v[40:43], v223 offset:8448                    // 0000000066A0: D9FE2100 280000DF
	v_mfma_scale_f32_16x16x128_f8f6f4 a[8:11], v[188:191], v[8:11], a[8:11], v211, v200 op_sel_hi:[0,0,0] cbsz:4 blgp:4// 0000000066A8: D3AC6800 000391D3 D3AD8C08 842211BC
	v_mfma_scale_f32_16x16x128_f8f6f4 a[12:15], v[188:191], v[12:15], a[12:15], v211, v200 op_sel_hi:[0,0,0] cbsz:4 blgp:4// 0000000066B8: D3AC7800 000391D3 D3AD8C0C 843219BC
	ds_read_b128 v[48:51], v223 offset:8512                    // 0000000066C8: D9FE2140 300000DF
	v_mfma_scale_f32_16x16x128_f8f6f4 a[0:3], v[192:195], v[16:19], a[0:3], v211, v200 op_sel_hi:[0,0,0] cbsz:4 blgp:4// 0000000066D0: D3AC6000 180391D3 D3AD8C00 840221C0
	s_add_u32 m0, 0x1400, s65                                  // 0000000066E0: 807C41FF 00001400
	buffer_load_dword v225, s[20:23], 0 offen lds              // 0000000066E8: E0511000 800500E1
	v_mfma_scale_f32_16x16x128_f8f6f4 a[4:7], v[192:195], v[20:23], a[4:7], v211, v200 op_sel_hi:[0,0,0] cbsz:4 blgp:4// 0000000066F0: D3AC7000 180391D3 D3AD8C04 841229C0
	ds_read_b128 v[44:47], v223 offset:8960                    // 000000006700: D9FE2300 2C0000DF
	v_mfma_scale_f32_16x16x128_f8f6f4 a[8:11], v[196:199], v[16:19], a[8:11], v211, v200 op_sel_hi:[0,0,0] cbsz:4 blgp:4// 000000006708: D3AC6800 180391D3 D3AD8C08 842221C4
	v_mfma_scale_f32_16x16x128_f8f6f4 a[12:15], v[196:199], v[20:23], a[12:15], v211, v200 op_sel_hi:[0,0,0] cbsz:4 blgp:4// 000000006718: D3AC7800 180391D3 D3AD8C0C 843229C4
	ds_read_b128 v[52:55], v223 offset:9024                    // 000000006728: D9FE2340 340000DF
	ds_read_b32 v202, v226 offset:6656                         // 000000006730: D86C1A00 CA0000E2
	s_waitcnt lgkmcnt(5)                                       // 000000006738: BF8CC57F
	v_mfma_scale_f32_16x16x128_f8f6f4 a[16:19], v[184:187], v[24:27], a[16:19], v211, v201 op_sel_hi:[0,0,0] cbsz:4 blgp:4// 00000000673C: D3AC6000 000393D3 D3AD8C10 844231B8
	s_add_u32 m0, 0x10800, s64                                 // 00000000674C: 807C40FF 00010800
	buffer_load_dwordx4 v212, s[12:15], 0 offen lds            // 000000006754: E05D1000 800300D4
	v_mfma_scale_f32_16x16x128_f8f6f4 a[20:23], v[184:187], v[28:31], a[20:23], v211, v201 op_sel_hi:[0,0,0] cbsz:4 blgp:4// 00000000675C: D3AC7000 000393D3 D3AD8C14 845239B8
	ds_read_b128 v[56:59], v223 offset:12672                   // 00000000676C: D9FE3180 380000DF
	v_mfma_scale_f32_16x16x128_f8f6f4 a[24:27], v[188:191], v[24:27], a[24:27], v211, v201 op_sel_hi:[0,0,0] cbsz:4 blgp:4// 000000006774: D3AC6800 000393D3 D3AD8C18 846231BC
	v_mfma_scale_f32_16x16x128_f8f6f4 a[28:31], v[188:191], v[28:31], a[28:31], v211, v201 op_sel_hi:[0,0,0] cbsz:4 blgp:4// 000000006784: D3AC7800 000393D3 D3AD8C1C 847239BC
	ds_read_b128 v[64:67], v223 offset:12736                   // 000000006794: D9FE31C0 400000DF
	v_mfma_scale_f32_16x16x128_f8f6f4 a[16:19], v[192:195], v[32:35], a[16:19], v211, v201 op_sel_hi:[0,0,0] cbsz:4 blgp:4// 00000000679C: D3AC6000 180393D3 D3AD8C10 844241C0
	s_add_u32 m0, 0x11880, s64                                 // 0000000067AC: 807C40FF 00011880
	buffer_load_dwordx4 v213, s[12:15], 0 offen lds            // 0000000067B4: E05D1000 800300D5
	v_mfma_scale_f32_16x16x128_f8f6f4 a[20:23], v[192:195], v[36:39], a[20:23], v211, v201 op_sel_hi:[0,0,0] cbsz:4 blgp:4// 0000000067BC: D3AC7000 180393D3 D3AD8C14 845249C0
	ds_read_b128 v[60:63], v223 offset:13184                   // 0000000067CC: D9FE3380 3C0000DF
	v_mfma_scale_f32_16x16x128_f8f6f4 a[24:27], v[196:199], v[32:35], a[24:27], v211, v201 op_sel_hi:[0,0,0] cbsz:4 blgp:4// 0000000067D4: D3AC6800 180393D3 D3AD8C18 846241C4
	v_mfma_scale_f32_16x16x128_f8f6f4 a[28:31], v[196:199], v[36:39], a[28:31], v211, v201 op_sel_hi:[0,0,0] cbsz:4 blgp:4// 0000000067E4: D3AC7800 180393D3 D3AD8C1C 847249C4
	ds_read_b128 v[68:71], v223 offset:13248                   // 0000000067F4: D9FE33C0 440000DF
	ds_read_b32 v203, v226 offset:6912                         // 0000000067FC: D86C1B00 CB0000E2
	s_waitcnt lgkmcnt(5)                                       // 000000006804: BF8CC57F
	v_mfma_scale_f32_16x16x128_f8f6f4 a[32:35], v[184:187], v[40:43], a[32:35], v211, v202 op_sel_hi:[0,0,0] cbsz:4 blgp:4// 000000006808: D3AC6000 000395D3 D3AD8C20 848251B8
	s_add_u32 m0, 0x12900, s64                                 // 000000006818: 807C40FF 00012900
	buffer_load_dwordx4 v214, s[12:15], 0 offen lds            // 000000006820: E05D1000 800300D6
	v_mfma_scale_f32_16x16x128_f8f6f4 a[36:39], v[184:187], v[44:47], a[36:39], v211, v202 op_sel_hi:[0,0,0] cbsz:4 blgp:4// 000000006828: D3AC7000 000395D3 D3AD8C24 849259B8
	ds_read_b128 v[72:75], v223 offset:16896                   // 000000006838: D9FE4200 480000DF
	v_mfma_scale_f32_16x16x128_f8f6f4 a[40:43], v[188:191], v[40:43], a[40:43], v211, v202 op_sel_hi:[0,0,0] cbsz:4 blgp:4// 000000006840: D3AC6800 000395D3 D3AD8C28 84A251BC
	v_mfma_scale_f32_16x16x128_f8f6f4 a[44:47], v[188:191], v[44:47], a[44:47], v211, v202 op_sel_hi:[0,0,0] cbsz:4 blgp:4// 000000006850: D3AC7800 000395D3 D3AD8C2C 84B259BC
	ds_read_b128 v[80:83], v223 offset:16960                   // 000000006860: D9FE4240 500000DF
	v_mfma_scale_f32_16x16x128_f8f6f4 a[32:35], v[192:195], v[48:51], a[32:35], v211, v202 op_sel_hi:[0,0,0] cbsz:4 blgp:4// 000000006868: D3AC6000 180395D3 D3AD8C20 848261C0
	s_add_u32 m0, 0x13980, s64                                 // 000000006878: 807C40FF 00013980
	buffer_load_dwordx4 v215, s[12:15], 0 offen lds            // 000000006880: E05D1000 800300D7
	v_mfma_scale_f32_16x16x128_f8f6f4 a[36:39], v[192:195], v[52:55], a[36:39], v211, v202 op_sel_hi:[0,0,0] cbsz:4 blgp:4// 000000006888: D3AC7000 180395D3 D3AD8C24 849269C0
	ds_read_b128 v[76:79], v223 offset:17408                   // 000000006898: D9FE4400 4C0000DF
	v_mfma_scale_f32_16x16x128_f8f6f4 a[40:43], v[196:199], v[48:51], a[40:43], v211, v202 op_sel_hi:[0,0,0] cbsz:4 blgp:4// 0000000068A0: D3AC6800 180395D3 D3AD8C28 84A261C4
	v_mfma_scale_f32_16x16x128_f8f6f4 a[44:47], v[196:199], v[52:55], a[44:47], v211, v202 op_sel_hi:[0,0,0] cbsz:4 blgp:4// 0000000068B0: D3AC7800 180395D3 D3AD8C2C 84B269C4
	ds_read_b128 v[84:87], v223 offset:17472                   // 0000000068C0: D9FE4440 540000DF
	ds_read_b32 v204, v226 offset:7168                         // 0000000068C8: D86C1C00 CC0000E2
	s_waitcnt lgkmcnt(5)                                       // 0000000068D0: BF8CC57F
	v_mfma_scale_f32_16x16x128_f8f6f4 a[48:51], v[184:187], v[56:59], a[48:51], v211, v203 op_sel_hi:[0,0,0] cbsz:4 blgp:4// 0000000068D4: D3AC6000 000397D3 D3AD8C30 84C271B8
	s_add_u32 m0, 0x14a00, s64                                 // 0000000068E4: 807C40FF 00014A00
	buffer_load_dwordx4 v216, s[12:15], 0 offen lds            // 0000000068EC: E05D1000 800300D8
	v_mfma_scale_f32_16x16x128_f8f6f4 a[52:55], v[184:187], v[60:63], a[52:55], v211, v203 op_sel_hi:[0,0,0] cbsz:4 blgp:4// 0000000068F4: D3AC7000 000397D3 D3AD8C34 84D279B8
	ds_read_b128 v[88:91], v223 offset:21120                   // 000000006904: D9FE5280 580000DF
	v_mfma_scale_f32_16x16x128_f8f6f4 a[56:59], v[188:191], v[56:59], a[56:59], v211, v203 op_sel_hi:[0,0,0] cbsz:4 blgp:4// 00000000690C: D3AC6800 000397D3 D3AD8C38 84E271BC
	v_mfma_scale_f32_16x16x128_f8f6f4 a[60:63], v[188:191], v[60:63], a[60:63], v211, v203 op_sel_hi:[0,0,0] cbsz:4 blgp:4// 00000000691C: D3AC7800 000397D3 D3AD8C3C 84F279BC
	ds_read_b128 v[96:99], v223 offset:21184                   // 00000000692C: D9FE52C0 600000DF
	v_mfma_scale_f32_16x16x128_f8f6f4 a[48:51], v[192:195], v[64:67], a[48:51], v211, v203 op_sel_hi:[0,0,0] cbsz:4 blgp:4// 000000006934: D3AC6000 180397D3 D3AD8C30 84C281C0
	s_add_u32 m0, 0x15a80, s64                                 // 000000006944: 807C40FF 00015A80
	buffer_load_dwordx4 v217, s[12:15], 0 offen lds            // 00000000694C: E05D1000 800300D9
	v_mfma_scale_f32_16x16x128_f8f6f4 a[52:55], v[192:195], v[68:71], a[52:55], v211, v203 op_sel_hi:[0,0,0] cbsz:4 blgp:4// 000000006954: D3AC7000 180397D3 D3AD8C34 84D289C0
	ds_read_b128 v[92:95], v223 offset:21632                   // 000000006964: D9FE5480 5C0000DF
	v_mfma_scale_f32_16x16x128_f8f6f4 a[56:59], v[196:199], v[64:67], a[56:59], v211, v203 op_sel_hi:[0,0,0] cbsz:4 blgp:4// 00000000696C: D3AC6800 180397D3 D3AD8C38 84E281C4
	v_mfma_scale_f32_16x16x128_f8f6f4 a[60:63], v[196:199], v[68:71], a[60:63], v211, v203 op_sel_hi:[0,0,0] cbsz:4 blgp:4// 00000000697C: D3AC7800 180397D3 D3AD8C3C 84F289C4
	ds_read_b128 v[100:103], v223 offset:21696                 // 00000000698C: D9FE54C0 640000DF
	ds_read_b32 v205, v226 offset:7424                         // 000000006994: D86C1D00 CD0000E2
	s_waitcnt lgkmcnt(5)                                       // 00000000699C: BF8CC57F
	v_mfma_scale_f32_16x16x128_f8f6f4 a[64:67], v[184:187], v[72:75], a[64:67], v211, v204 op_sel_hi:[0,0,0] cbsz:4 blgp:4// 0000000069A0: D3AC6000 000399D3 D3AD8C40 850291B8
	s_add_u32 m0, 0x16b00, s64                                 // 0000000069B0: 807C40FF 00016B00
	buffer_load_dwordx4 v218, s[12:15], 0 offen lds            // 0000000069B8: E05D1000 800300DA
	v_mfma_scale_f32_16x16x128_f8f6f4 a[68:71], v[184:187], v[76:79], a[68:71], v211, v204 op_sel_hi:[0,0,0] cbsz:4 blgp:4// 0000000069C0: D3AC7000 000399D3 D3AD8C44 851299B8
	ds_read_b128 v[104:107], v223 offset:25344                 // 0000000069D0: D9FE6300 680000DF
	v_mfma_scale_f32_16x16x128_f8f6f4 a[72:75], v[188:191], v[72:75], a[72:75], v211, v204 op_sel_hi:[0,0,0] cbsz:4 blgp:4// 0000000069D8: D3AC6800 000399D3 D3AD8C48 852291BC
	v_mfma_scale_f32_16x16x128_f8f6f4 a[76:79], v[188:191], v[76:79], a[76:79], v211, v204 op_sel_hi:[0,0,0] cbsz:4 blgp:4// 0000000069E8: D3AC7800 000399D3 D3AD8C4C 853299BC
	ds_read_b128 v[112:115], v223 offset:25408                 // 0000000069F8: D9FE6340 700000DF
	v_mfma_scale_f32_16x16x128_f8f6f4 a[64:67], v[192:195], v[80:83], a[64:67], v211, v204 op_sel_hi:[0,0,0] cbsz:4 blgp:4// 000000006A00: D3AC6000 180399D3 D3AD8C40 8502A1C0
	s_add_u32 m0, 0x17b80, s64                                 // 000000006A10: 807C40FF 00017B80
	buffer_load_dwordx4 v219, s[12:15], 0 offen lds            // 000000006A18: E05D1000 800300DB
	v_mfma_scale_f32_16x16x128_f8f6f4 a[68:71], v[192:195], v[84:87], a[68:71], v211, v204 op_sel_hi:[0,0,0] cbsz:4 blgp:4// 000000006A20: D3AC7000 180399D3 D3AD8C44 8512A9C0
	s_add_u32 s62, 0x400, s60                                  // 000000006A30: 803E3CFF 00000400
	ds_read_b128 v[108:111], v223 offset:25856                 // 000000006A38: D9FE6500 6C0000DF
	v_mfma_scale_f32_16x16x128_f8f6f4 a[72:75], v[196:199], v[80:83], a[72:75], v211, v204 op_sel_hi:[0,0,0] cbsz:4 blgp:4// 000000006A40: D3AC6800 180399D3 D3AD8C48 8522A1C4
	s_cmp_lt_u32 s62, s61                                      // 000000006A50: BF0A3D3E
	s_cselect_b32 s66, s66, 0                                  // 000000006A54: 85428042
	v_mfma_scale_f32_16x16x128_f8f6f4 a[76:79], v[196:199], v[84:87], a[76:79], v211, v204 op_sel_hi:[0,0,0] cbsz:4 blgp:4// 000000006A58: D3AC7800 180399D3 D3AD8C4C 8532A9C4
	s_cselect_b32 s68, s68, 0                                  // 000000006A68: 85448044
	ds_read_b128 v[116:119], v223 offset:25920                 // 000000006A6C: D9FE6540 740000DF
	ds_read_b32 v206, v226 offset:7680                         // 000000006A74: D86C1E00 CE0000E2
	s_waitcnt lgkmcnt(5)                                       // 000000006A7C: BF8CC57F
	v_mfma_scale_f32_16x16x128_f8f6f4 a[80:83], v[184:187], v[88:91], a[80:83], v211, v205 op_sel_hi:[0,0,0] cbsz:4 blgp:4// 000000006A80: D3AC6000 00039BD3 D3AD8C50 8542B1B8
	s_add_u32 s12, s12, s66                                    // 000000006A90: 800C420C
	buffer_load_dwordx4 v[168:171], v227, s[16:19], 0 offen    // 000000006A94: E05C1000 8004A8E3
	v_mfma_scale_f32_16x16x128_f8f6f4 a[84:87], v[184:187], v[92:95], a[84:87], v211, v205 op_sel_hi:[0,0,0] cbsz:4 blgp:4// 000000006A9C: D3AC7000 00039BD3 D3AD8C54 8552B9B8
	s_addc_u32 s13, 0, s13                                     // 000000006AAC: 820D0D80
	ds_read_b128 v[120:123], v223 offset:29568                 // 000000006AB0: D9FE7380 780000DF
	v_mfma_scale_f32_16x16x128_f8f6f4 a[88:91], v[188:191], v[88:91], a[88:91], v211, v205 op_sel_hi:[0,0,0] cbsz:4 blgp:4// 000000006AB8: D3AC6800 00039BD3 D3AD8C58 8562B1BC
	s_sub_u32 s14, s14, s66                                    // 000000006AC8: 808E420E
	s_add_u32 s20, s20, s68                                    // 000000006ACC: 80144414
	v_mfma_scale_f32_16x16x128_f8f6f4 a[92:95], v[188:191], v[92:95], a[92:95], v211, v205 op_sel_hi:[0,0,0] cbsz:4 blgp:4// 000000006AD0: D3AC7800 00039BD3 D3AD8C5C 8572B9BC
	s_addc_u32 s21, 0, s21                                     // 000000006AE0: 82151580
	ds_read_b128 v[128:131], v223 offset:29632                 // 000000006AE4: D9FE73C0 800000DF
	v_mfma_scale_f32_16x16x128_f8f6f4 a[80:83], v[192:195], v[96:99], a[80:83], v211, v205 op_sel_hi:[0,0,0] cbsz:4 blgp:4// 000000006AEC: D3AC6000 18039BD3 D3AD8C50 8542C1C0
	s_sub_u32 s22, s22, s68                                    // 000000006AFC: 80964416
	buffer_load_dwordx4 v[172:175], v228, s[16:19], 0 offen    // 000000006B00: E05C1000 8004ACE4
	v_mfma_scale_f32_16x16x128_f8f6f4 a[84:87], v[192:195], v[100:103], a[84:87], v211, v205 op_sel_hi:[0,0,0] cbsz:4 blgp:4// 000000006B08: D3AC7000 18039BD3 D3AD8C54 8552C9C0
	s_add_u32 s63, 0x400, s60                                  // 000000006B18: 803F3CFF 00000400
	ds_read_b128 v[124:127], v223 offset:30080                 // 000000006B20: D9FE7580 7C0000DF
	v_mfma_scale_f32_16x16x128_f8f6f4 a[88:91], v[196:199], v[96:99], a[88:91], v211, v205 op_sel_hi:[0,0,0] cbsz:4 blgp:4// 000000006B28: D3AC6800 18039BD3 D3AD8C58 8562C1C4
	s_cmp_lt_u32 s63, s61                                      // 000000006B38: BF0A3D3F
	s_cselect_b32 s67, s67, 0                                  // 000000006B3C: 85438043
	v_mfma_scale_f32_16x16x128_f8f6f4 a[92:95], v[196:199], v[100:103], a[92:95], v211, v205 op_sel_hi:[0,0,0] cbsz:4 blgp:4// 000000006B40: D3AC7800 18039BD3 D3AD8C5C 8572C9C4
	s_cselect_b32 s69, s69, 0                                  // 000000006B50: 85458045
	ds_read_b128 v[132:135], v223 offset:30144                 // 000000006B54: D9FE75C0 840000DF
	ds_read_b32 v207, v226 offset:7936                         // 000000006B5C: D86C1F00 CF0000E2
	s_waitcnt vmcnt(38) lgkmcnt(5)                             // 000000006B64: BF8C8576
	s_barrier                                                  // 000000006B68: BF8A0000
	v_mfma_scale_f32_16x16x128_f8f6f4 a[96:99], v[184:187], v[104:107], a[96:99], v211, v206 op_sel_hi:[0,0,0] cbsz:4 blgp:4// 000000006B6C: D3AC6000 00039DD3 D3AD8C60 8582D1B8
	buffer_load_dwordx4 v[176:179], v227, s[16:19], 0 offen offset:1024// 000000006B7C: E05C1400 8004B0E3
	v_mfma_scale_f32_16x16x128_f8f6f4 a[100:103], v[184:187], v[108:111], a[100:103], v211, v206 op_sel_hi:[0,0,0] cbsz:4 blgp:4// 000000006B84: D3AC7000 00039DD3 D3AD8C64 8592D9B8
	ds_read_b128 v[8:11], v220                                 // 000000006B94: D9FE0000 080000DC
	v_mfma_scale_f32_16x16x128_f8f6f4 a[104:107], v[188:191], v[104:107], a[104:107], v211, v206 op_sel_hi:[0,0,0] cbsz:4 blgp:4// 000000006B9C: D3AC6800 00039DD3 D3AD8C68 85A2D1BC
	v_mfma_scale_f32_16x16x128_f8f6f4 a[108:111], v[188:191], v[108:111], a[108:111], v211, v206 op_sel_hi:[0,0,0] cbsz:4 blgp:4// 000000006BAC: D3AC7800 00039DD3 D3AD8C6C 85B2D9BC
	ds_read_b128 v[16:19], v220 offset:64                      // 000000006BBC: D9FE0040 100000DC
	v_mfma_scale_f32_16x16x128_f8f6f4 a[96:99], v[192:195], v[112:115], a[96:99], v211, v206 op_sel_hi:[0,0,0] cbsz:4 blgp:4// 000000006BC4: D3AC6000 18039DD3 D3AD8C60 8582E1C0
	buffer_load_dwordx4 v[180:183], v228, s[16:19], 0 offen offset:1024// 000000006BD4: E05C1400 8004B4E4
	v_mfma_scale_f32_16x16x128_f8f6f4 a[100:103], v[192:195], v[116:119], a[100:103], v211, v206 op_sel_hi:[0,0,0] cbsz:4 blgp:4// 000000006BDC: D3AC7000 18039DD3 D3AD8C64 8592E9C0
	ds_read_b128 v[12:15], v220 offset:512                     // 000000006BEC: D9FE0200 0C0000DC
	v_mfma_scale_f32_16x16x128_f8f6f4 a[104:107], v[196:199], v[112:115], a[104:107], v211, v206 op_sel_hi:[0,0,0] cbsz:4 blgp:4// 000000006BF4: D3AC6800 18039DD3 D3AD8C68 85A2E1C4
	v_mfma_scale_f32_16x16x128_f8f6f4 a[108:111], v[196:199], v[116:119], a[108:111], v211, v206 op_sel_hi:[0,0,0] cbsz:4 blgp:4// 000000006C04: D3AC7800 18039DD3 D3AD8C6C 85B2E9C4
	ds_read_b128 v[20:23], v220 offset:576                     // 000000006C14: D9FE0240 140000DC
	ds_read_b32 v200, v226                                     // 000000006C1C: D86C0000 C80000E2
	s_waitcnt lgkmcnt(5)                                       // 000000006C24: BF8CC57F
	v_mfma_scale_f32_16x16x128_f8f6f4 a[112:115], v[184:187], v[120:123], a[112:115], v211, v207 op_sel_hi:[0,0,0] cbsz:4 blgp:4// 000000006C28: D3AC6000 00039FD3 D3AD8C70 85C2F1B8
	buffer_load_dword v210, v229, s[24:27], 0 offen            // 000000006C38: E0501000 8006D2E5
	v_mfma_scale_f32_16x16x128_f8f6f4 a[116:119], v[184:187], v[124:127], a[116:119], v211, v207 op_sel_hi:[0,0,0] cbsz:4 blgp:4// 000000006C40: D3AC7000 00039FD3 D3AD8C74 85D2F9B8
	s_add_u32 s16, s16, s67                                    // 000000006C50: 80104310
	ds_read_b128 v[24:27], v220 offset:4224                    // 000000006C54: D9FE1080 180000DC
	v_mfma_scale_f32_16x16x128_f8f6f4 a[120:123], v[188:191], v[120:123], a[120:123], v211, v207 op_sel_hi:[0,0,0] cbsz:4 blgp:4// 000000006C5C: D3AC6800 00039FD3 D3AD8C78 85E2F1BC
	s_addc_u32 s17, 0, s17                                     // 000000006C6C: 82111180
	s_sub_u32 s18, s18, s67                                    // 000000006C70: 80924312
	v_mfma_scale_f32_16x16x128_f8f6f4 a[124:127], v[188:191], v[124:127], a[124:127], v211, v207 op_sel_hi:[0,0,0] cbsz:4 blgp:4// 000000006C74: D3AC7800 00039FD3 D3AD8C7C 85F2F9BC
	s_add_u32 s24, s24, s69                                    // 000000006C84: 80184518
	ds_read_b128 v[32:35], v220 offset:4288                    // 000000006C88: D9FE10C0 200000DC
	v_mfma_scale_f32_16x16x128_f8f6f4 a[112:115], v[192:195], v[128:131], a[112:115], v211, v207 op_sel_hi:[0,0,0] cbsz:4 blgp:4// 000000006C90: D3AC6000 18039FD3 D3AD8C70 85C301C0
	s_addc_u32 s25, 0, s25                                     // 000000006CA0: 82191980
	s_sub_u32 s26, s26, s69                                    // 000000006CA4: 809A451A
	v_mfma_scale_f32_16x16x128_f8f6f4 a[116:119], v[192:195], v[132:135], a[116:119], v211, v207 op_sel_hi:[0,0,0] cbsz:4 blgp:4// 000000006CA8: D3AC7000 18039FD3 D3AD8C74 85D309C0
	s_addk_i32 s60, 0x100                                      // 000000006CB8: B73C0100
	ds_read_b128 v[28:31], v220 offset:4736                    // 000000006CBC: D9FE1280 1C0000DC
	v_mfma_scale_f32_16x16x128_f8f6f4 a[120:123], v[196:199], v[128:131], a[120:123], v211, v207 op_sel_hi:[0,0,0] cbsz:4 blgp:4// 000000006CC4: D3AC6800 18039FD3 D3AD8C78 85E301C4
	s_cmp_lt_i32 s60, s61                                      // 000000006CD4: BF043D3C
	v_mfma_scale_f32_16x16x128_f8f6f4 a[124:127], v[196:199], v[132:135], a[124:127], v211, v207 op_sel_hi:[0,0,0] cbsz:4 blgp:4// 000000006CD8: D3AC7800 18039FD3 D3AD8C7C 85F309C4
	ds_read_b128 v[36:39], v220 offset:4800                    // 000000006CE8: D9FE12C0 240000DC
	ds_read_b32 v201, v226 offset:256                          // 000000006CF0: D86C0100 C90000E2
	s_cbranch_scc0 label_1040                                  // 000000006CF8: BF840001
	s_branch label_09AD                                        // 000000006CFC: BF82F96D

0000000000006d00 <label_1040>:
	s_waitcnt lgkmcnt(0)                                       // 000000006D00: BF8CC07F
	s_mul_i32 s62, s47, 0x80                                   // 000000006D04: 923EFF2F 00000080
	s_mul_i32 s63, s46, 32                                     // 000000006D0C: 923FA02E
	s_add_u32 s60, s62, s63                                    // 000000006D10: 803C3F3E
	s_add_u32 s62, s60, 32                                     // 000000006D14: 803EA03C
	s_cmp_lt_i32 s44, s62                                      // 000000006D18: BF043E2C
	s_cbranch_scc1 label_124B                                  // 000000006D1C: BF850203
	s_mul_i32 s62, s36, 16                                     // 000000006D20: 923E9024
	v_add_u32_e32 v234, 0, v230                                // 000000006D24: 69D5CC80
	v_accvgpr_read_b32 v8, a0                                  // 000000006D28: D3D84008 18000100
	v_accvgpr_read_b32 v9, a1                                  // 000000006D30: D3D84009 18000101
	v_accvgpr_read_b32 v10, a2                                 // 000000006D38: D3D8400A 18000102
	v_accvgpr_read_b32 v11, a3                                 // 000000006D40: D3D8400B 18000103
	v_accvgpr_read_b32 v12, a8                                 // 000000006D48: D3D8400C 18000108
	v_accvgpr_read_b32 v13, a9                                 // 000000006D50: D3D8400D 18000109
	v_accvgpr_read_b32 v14, a10                                // 000000006D58: D3D8400E 1800010A
	v_accvgpr_read_b32 v15, a11                                // 000000006D60: D3D8400F 1800010B
	v_cvt_pk_bf16_f32 v16, v8, v9                              // 000000006D68: D2680010 00021308
	v_cvt_pk_bf16_f32 v17, v10, v11                            // 000000006D70: D2680011 0002170A
	v_cvt_pk_bf16_f32 v18, v12, v13                            // 000000006D78: D2680012 00021B0C
	v_cvt_pk_bf16_f32 v19, v14, v15                            // 000000006D80: D2680013 00021F0E
	s_nop 1                                                    // 000000006D88: BF800001
	v_permlane16_swap_b32_e32 v16, v18                         // 000000006D8C: 7E20B312
	s_nop 1                                                    // 000000006D90: BF800001
	v_permlane16_swap_b32_e32 v17, v19                         // 000000006D94: 7E22B313
	s_nop 1                                                    // 000000006D98: BF800001
	buffer_store_dwordx4 v[16:19], v234, s[4:7], 0 offen       // 000000006D9C: E07C1000 800110EA
	v_add_u32_e32 v234, s62, v234                              // 000000006DA4: 69D5D43E
	v_accvgpr_read_b32 v8, a4                                  // 000000006DA8: D3D84008 18000104
	v_accvgpr_read_b32 v9, a5                                  // 000000006DB0: D3D84009 18000105
	v_accvgpr_read_b32 v10, a6                                 // 000000006DB8: D3D8400A 18000106
	v_accvgpr_read_b32 v11, a7                                 // 000000006DC0: D3D8400B 18000107
	v_accvgpr_read_b32 v12, a12                                // 000000006DC8: D3D8400C 1800010C
	v_accvgpr_read_b32 v13, a13                                // 000000006DD0: D3D8400D 1800010D
	v_accvgpr_read_b32 v14, a14                                // 000000006DD8: D3D8400E 1800010E
	v_accvgpr_read_b32 v15, a15                                // 000000006DE0: D3D8400F 1800010F
	v_cvt_pk_bf16_f32 v16, v8, v9                              // 000000006DE8: D2680010 00021308
	v_cvt_pk_bf16_f32 v17, v10, v11                            // 000000006DF0: D2680011 0002170A
	v_cvt_pk_bf16_f32 v18, v12, v13                            // 000000006DF8: D2680012 00021B0C
	v_cvt_pk_bf16_f32 v19, v14, v15                            // 000000006E00: D2680013 00021F0E
	s_nop 1                                                    // 000000006E08: BF800001
	v_permlane16_swap_b32_e32 v16, v18                         // 000000006E0C: 7E20B312
	s_nop 1                                                    // 000000006E10: BF800001
	v_permlane16_swap_b32_e32 v17, v19                         // 000000006E14: 7E22B313
	s_nop 1                                                    // 000000006E18: BF800001
	buffer_store_dwordx4 v[16:19], v234, s[4:7], 0 offen       // 000000006E1C: E07C1000 800110EA
	v_add_u32_e32 v234, s62, v234                              // 000000006E24: 69D5D43E
	v_accvgpr_read_b32 v8, a16                                 // 000000006E28: D3D84008 18000110
	v_accvgpr_read_b32 v9, a17                                 // 000000006E30: D3D84009 18000111
	v_accvgpr_read_b32 v10, a18                                // 000000006E38: D3D8400A 18000112
	v_accvgpr_read_b32 v11, a19                                // 000000006E40: D3D8400B 18000113
	v_accvgpr_read_b32 v12, a24                                // 000000006E48: D3D8400C 18000118
	v_accvgpr_read_b32 v13, a25                                // 000000006E50: D3D8400D 18000119
	v_accvgpr_read_b32 v14, a26                                // 000000006E58: D3D8400E 1800011A
	v_accvgpr_read_b32 v15, a27                                // 000000006E60: D3D8400F 1800011B
	v_cvt_pk_bf16_f32 v16, v8, v9                              // 000000006E68: D2680010 00021308
	v_cvt_pk_bf16_f32 v17, v10, v11                            // 000000006E70: D2680011 0002170A
	v_cvt_pk_bf16_f32 v18, v12, v13                            // 000000006E78: D2680012 00021B0C
	v_cvt_pk_bf16_f32 v19, v14, v15                            // 000000006E80: D2680013 00021F0E
	s_nop 1                                                    // 000000006E88: BF800001
	v_permlane16_swap_b32_e32 v16, v18                         // 000000006E8C: 7E20B312
	s_nop 1                                                    // 000000006E90: BF800001
	v_permlane16_swap_b32_e32 v17, v19                         // 000000006E94: 7E22B313
	s_nop 1                                                    // 000000006E98: BF800001
	buffer_store_dwordx4 v[16:19], v234, s[4:7], 0 offen       // 000000006E9C: E07C1000 800110EA
	v_add_u32_e32 v234, s62, v234                              // 000000006EA4: 69D5D43E
	v_accvgpr_read_b32 v8, a20                                 // 000000006EA8: D3D84008 18000114
	v_accvgpr_read_b32 v9, a21                                 // 000000006EB0: D3D84009 18000115
	v_accvgpr_read_b32 v10, a22                                // 000000006EB8: D3D8400A 18000116
	v_accvgpr_read_b32 v11, a23                                // 000000006EC0: D3D8400B 18000117
	v_accvgpr_read_b32 v12, a28                                // 000000006EC8: D3D8400C 1800011C
	v_accvgpr_read_b32 v13, a29                                // 000000006ED0: D3D8400D 1800011D
	v_accvgpr_read_b32 v14, a30                                // 000000006ED8: D3D8400E 1800011E
	v_accvgpr_read_b32 v15, a31                                // 000000006EE0: D3D8400F 1800011F
	v_cvt_pk_bf16_f32 v16, v8, v9                              // 000000006EE8: D2680010 00021308
	v_cvt_pk_bf16_f32 v17, v10, v11                            // 000000006EF0: D2680011 0002170A
	v_cvt_pk_bf16_f32 v18, v12, v13                            // 000000006EF8: D2680012 00021B0C
	v_cvt_pk_bf16_f32 v19, v14, v15                            // 000000006F00: D2680013 00021F0E
	s_nop 1                                                    // 000000006F08: BF800001
	v_permlane16_swap_b32_e32 v16, v18                         // 000000006F0C: 7E20B312
	s_nop 1                                                    // 000000006F10: BF800001
	v_permlane16_swap_b32_e32 v17, v19                         // 000000006F14: 7E22B313
	s_nop 1                                                    // 000000006F18: BF800001
	buffer_store_dwordx4 v[16:19], v234, s[4:7], 0 offen       // 000000006F1C: E07C1000 800110EA
	v_add_u32_e32 v234, s62, v234                              // 000000006F24: 69D5D43E
	v_accvgpr_read_b32 v8, a32                                 // 000000006F28: D3D84008 18000120
	v_accvgpr_read_b32 v9, a33                                 // 000000006F30: D3D84009 18000121
	v_accvgpr_read_b32 v10, a34                                // 000000006F38: D3D8400A 18000122
	v_accvgpr_read_b32 v11, a35                                // 000000006F40: D3D8400B 18000123
	v_accvgpr_read_b32 v12, a40                                // 000000006F48: D3D8400C 18000128
	v_accvgpr_read_b32 v13, a41                                // 000000006F50: D3D8400D 18000129
	v_accvgpr_read_b32 v14, a42                                // 000000006F58: D3D8400E 1800012A
	v_accvgpr_read_b32 v15, a43                                // 000000006F60: D3D8400F 1800012B
	v_cvt_pk_bf16_f32 v16, v8, v9                              // 000000006F68: D2680010 00021308
	v_cvt_pk_bf16_f32 v17, v10, v11                            // 000000006F70: D2680011 0002170A
	v_cvt_pk_bf16_f32 v18, v12, v13                            // 000000006F78: D2680012 00021B0C
	v_cvt_pk_bf16_f32 v19, v14, v15                            // 000000006F80: D2680013 00021F0E
	s_nop 1                                                    // 000000006F88: BF800001
	v_permlane16_swap_b32_e32 v16, v18                         // 000000006F8C: 7E20B312
	s_nop 1                                                    // 000000006F90: BF800001
	v_permlane16_swap_b32_e32 v17, v19                         // 000000006F94: 7E22B313
	s_nop 1                                                    // 000000006F98: BF800001
	buffer_store_dwordx4 v[16:19], v234, s[4:7], 0 offen       // 000000006F9C: E07C1000 800110EA
	v_add_u32_e32 v234, s62, v234                              // 000000006FA4: 69D5D43E
	v_accvgpr_read_b32 v8, a36                                 // 000000006FA8: D3D84008 18000124
	v_accvgpr_read_b32 v9, a37                                 // 000000006FB0: D3D84009 18000125
	v_accvgpr_read_b32 v10, a38                                // 000000006FB8: D3D8400A 18000126
	v_accvgpr_read_b32 v11, a39                                // 000000006FC0: D3D8400B 18000127
	v_accvgpr_read_b32 v12, a44                                // 000000006FC8: D3D8400C 1800012C
	v_accvgpr_read_b32 v13, a45                                // 000000006FD0: D3D8400D 1800012D
	v_accvgpr_read_b32 v14, a46                                // 000000006FD8: D3D8400E 1800012E
	v_accvgpr_read_b32 v15, a47                                // 000000006FE0: D3D8400F 1800012F
	v_cvt_pk_bf16_f32 v16, v8, v9                              // 000000006FE8: D2680010 00021308
	v_cvt_pk_bf16_f32 v17, v10, v11                            // 000000006FF0: D2680011 0002170A
	v_cvt_pk_bf16_f32 v18, v12, v13                            // 000000006FF8: D2680012 00021B0C
	v_cvt_pk_bf16_f32 v19, v14, v15                            // 000000007000: D2680013 00021F0E
	s_nop 1                                                    // 000000007008: BF800001
	v_permlane16_swap_b32_e32 v16, v18                         // 00000000700C: 7E20B312
	s_nop 1                                                    // 000000007010: BF800001
	v_permlane16_swap_b32_e32 v17, v19                         // 000000007014: 7E22B313
	s_nop 1                                                    // 000000007018: BF800001
	buffer_store_dwordx4 v[16:19], v234, s[4:7], 0 offen       // 00000000701C: E07C1000 800110EA
	v_add_u32_e32 v234, s62, v234                              // 000000007024: 69D5D43E
	v_accvgpr_read_b32 v8, a48                                 // 000000007028: D3D84008 18000130
	v_accvgpr_read_b32 v9, a49                                 // 000000007030: D3D84009 18000131
	v_accvgpr_read_b32 v10, a50                                // 000000007038: D3D8400A 18000132
	v_accvgpr_read_b32 v11, a51                                // 000000007040: D3D8400B 18000133
	v_accvgpr_read_b32 v12, a56                                // 000000007048: D3D8400C 18000138
	v_accvgpr_read_b32 v13, a57                                // 000000007050: D3D8400D 18000139
	v_accvgpr_read_b32 v14, a58                                // 000000007058: D3D8400E 1800013A
	v_accvgpr_read_b32 v15, a59                                // 000000007060: D3D8400F 1800013B
	v_cvt_pk_bf16_f32 v16, v8, v9                              // 000000007068: D2680010 00021308
	v_cvt_pk_bf16_f32 v17, v10, v11                            // 000000007070: D2680011 0002170A
	v_cvt_pk_bf16_f32 v18, v12, v13                            // 000000007078: D2680012 00021B0C
	v_cvt_pk_bf16_f32 v19, v14, v15                            // 000000007080: D2680013 00021F0E
	s_nop 1                                                    // 000000007088: BF800001
	v_permlane16_swap_b32_e32 v16, v18                         // 00000000708C: 7E20B312
	s_nop 1                                                    // 000000007090: BF800001
	v_permlane16_swap_b32_e32 v17, v19                         // 000000007094: 7E22B313
	s_nop 1                                                    // 000000007098: BF800001
	buffer_store_dwordx4 v[16:19], v234, s[4:7], 0 offen       // 00000000709C: E07C1000 800110EA
	v_add_u32_e32 v234, s62, v234                              // 0000000070A4: 69D5D43E
	v_accvgpr_read_b32 v8, a52                                 // 0000000070A8: D3D84008 18000134
	v_accvgpr_read_b32 v9, a53                                 // 0000000070B0: D3D84009 18000135
	v_accvgpr_read_b32 v10, a54                                // 0000000070B8: D3D8400A 18000136
	v_accvgpr_read_b32 v11, a55                                // 0000000070C0: D3D8400B 18000137
	v_accvgpr_read_b32 v12, a60                                // 0000000070C8: D3D8400C 1800013C
	v_accvgpr_read_b32 v13, a61                                // 0000000070D0: D3D8400D 1800013D
	v_accvgpr_read_b32 v14, a62                                // 0000000070D8: D3D8400E 1800013E
	v_accvgpr_read_b32 v15, a63                                // 0000000070E0: D3D8400F 1800013F
	v_cvt_pk_bf16_f32 v16, v8, v9                              // 0000000070E8: D2680010 00021308
	v_cvt_pk_bf16_f32 v17, v10, v11                            // 0000000070F0: D2680011 0002170A
	v_cvt_pk_bf16_f32 v18, v12, v13                            // 0000000070F8: D2680012 00021B0C
	v_cvt_pk_bf16_f32 v19, v14, v15                            // 000000007100: D2680013 00021F0E
	s_nop 1                                                    // 000000007108: BF800001
	v_permlane16_swap_b32_e32 v16, v18                         // 00000000710C: 7E20B312
	s_nop 1                                                    // 000000007110: BF800001
	v_permlane16_swap_b32_e32 v17, v19                         // 000000007114: 7E22B313
	s_nop 1                                                    // 000000007118: BF800001
	buffer_store_dwordx4 v[16:19], v234, s[4:7], 0 offen       // 00000000711C: E07C1000 800110EA
	v_add_u32_e32 v234, s62, v234                              // 000000007124: 69D5D43E
	v_accvgpr_read_b32 v8, a64                                 // 000000007128: D3D84008 18000140
	v_accvgpr_read_b32 v9, a65                                 // 000000007130: D3D84009 18000141
	v_accvgpr_read_b32 v10, a66                                // 000000007138: D3D8400A 18000142
	v_accvgpr_read_b32 v11, a67                                // 000000007140: D3D8400B 18000143
	v_accvgpr_read_b32 v12, a72                                // 000000007148: D3D8400C 18000148
	v_accvgpr_read_b32 v13, a73                                // 000000007150: D3D8400D 18000149
	v_accvgpr_read_b32 v14, a74                                // 000000007158: D3D8400E 1800014A
	v_accvgpr_read_b32 v15, a75                                // 000000007160: D3D8400F 1800014B
	v_cvt_pk_bf16_f32 v16, v8, v9                              // 000000007168: D2680010 00021308
	v_cvt_pk_bf16_f32 v17, v10, v11                            // 000000007170: D2680011 0002170A
	v_cvt_pk_bf16_f32 v18, v12, v13                            // 000000007178: D2680012 00021B0C
	v_cvt_pk_bf16_f32 v19, v14, v15                            // 000000007180: D2680013 00021F0E
	s_nop 1                                                    // 000000007188: BF800001
	v_permlane16_swap_b32_e32 v16, v18                         // 00000000718C: 7E20B312
	s_nop 1                                                    // 000000007190: BF800001
	v_permlane16_swap_b32_e32 v17, v19                         // 000000007194: 7E22B313
	s_nop 1                                                    // 000000007198: BF800001
	buffer_store_dwordx4 v[16:19], v234, s[4:7], 0 offen       // 00000000719C: E07C1000 800110EA
	v_add_u32_e32 v234, s62, v234                              // 0000000071A4: 69D5D43E
	v_accvgpr_read_b32 v8, a68                                 // 0000000071A8: D3D84008 18000144
	v_accvgpr_read_b32 v9, a69                                 // 0000000071B0: D3D84009 18000145
	v_accvgpr_read_b32 v10, a70                                // 0000000071B8: D3D8400A 18000146
	v_accvgpr_read_b32 v11, a71                                // 0000000071C0: D3D8400B 18000147
	v_accvgpr_read_b32 v12, a76                                // 0000000071C8: D3D8400C 1800014C
	v_accvgpr_read_b32 v13, a77                                // 0000000071D0: D3D8400D 1800014D
	v_accvgpr_read_b32 v14, a78                                // 0000000071D8: D3D8400E 1800014E
	v_accvgpr_read_b32 v15, a79                                // 0000000071E0: D3D8400F 1800014F
	v_cvt_pk_bf16_f32 v16, v8, v9                              // 0000000071E8: D2680010 00021308
	v_cvt_pk_bf16_f32 v17, v10, v11                            // 0000000071F0: D2680011 0002170A
	v_cvt_pk_bf16_f32 v18, v12, v13                            // 0000000071F8: D2680012 00021B0C
	v_cvt_pk_bf16_f32 v19, v14, v15                            // 000000007200: D2680013 00021F0E
	s_nop 1                                                    // 000000007208: BF800001
	v_permlane16_swap_b32_e32 v16, v18                         // 00000000720C: 7E20B312
	s_nop 1                                                    // 000000007210: BF800001
	v_permlane16_swap_b32_e32 v17, v19                         // 000000007214: 7E22B313
	s_nop 1                                                    // 000000007218: BF800001
	buffer_store_dwordx4 v[16:19], v234, s[4:7], 0 offen       // 00000000721C: E07C1000 800110EA
	v_add_u32_e32 v234, s62, v234                              // 000000007224: 69D5D43E
	v_accvgpr_read_b32 v8, a80                                 // 000000007228: D3D84008 18000150
	v_accvgpr_read_b32 v9, a81                                 // 000000007230: D3D84009 18000151
	v_accvgpr_read_b32 v10, a82                                // 000000007238: D3D8400A 18000152
	v_accvgpr_read_b32 v11, a83                                // 000000007240: D3D8400B 18000153
	v_accvgpr_read_b32 v12, a88                                // 000000007248: D3D8400C 18000158
	v_accvgpr_read_b32 v13, a89                                // 000000007250: D3D8400D 18000159
	v_accvgpr_read_b32 v14, a90                                // 000000007258: D3D8400E 1800015A
	v_accvgpr_read_b32 v15, a91                                // 000000007260: D3D8400F 1800015B
	v_cvt_pk_bf16_f32 v16, v8, v9                              // 000000007268: D2680010 00021308
	v_cvt_pk_bf16_f32 v17, v10, v11                            // 000000007270: D2680011 0002170A
	v_cvt_pk_bf16_f32 v18, v12, v13                            // 000000007278: D2680012 00021B0C
	v_cvt_pk_bf16_f32 v19, v14, v15                            // 000000007280: D2680013 00021F0E
	s_nop 1                                                    // 000000007288: BF800001
	v_permlane16_swap_b32_e32 v16, v18                         // 00000000728C: 7E20B312
	s_nop 1                                                    // 000000007290: BF800001
	v_permlane16_swap_b32_e32 v17, v19                         // 000000007294: 7E22B313
	s_nop 1                                                    // 000000007298: BF800001
	buffer_store_dwordx4 v[16:19], v234, s[4:7], 0 offen       // 00000000729C: E07C1000 800110EA
	v_add_u32_e32 v234, s62, v234                              // 0000000072A4: 69D5D43E
	v_accvgpr_read_b32 v8, a84                                 // 0000000072A8: D3D84008 18000154
	v_accvgpr_read_b32 v9, a85                                 // 0000000072B0: D3D84009 18000155
	v_accvgpr_read_b32 v10, a86                                // 0000000072B8: D3D8400A 18000156
	v_accvgpr_read_b32 v11, a87                                // 0000000072C0: D3D8400B 18000157
	v_accvgpr_read_b32 v12, a92                                // 0000000072C8: D3D8400C 1800015C
	v_accvgpr_read_b32 v13, a93                                // 0000000072D0: D3D8400D 1800015D
	v_accvgpr_read_b32 v14, a94                                // 0000000072D8: D3D8400E 1800015E
	v_accvgpr_read_b32 v15, a95                                // 0000000072E0: D3D8400F 1800015F
	v_cvt_pk_bf16_f32 v16, v8, v9                              // 0000000072E8: D2680010 00021308
	v_cvt_pk_bf16_f32 v17, v10, v11                            // 0000000072F0: D2680011 0002170A
	v_cvt_pk_bf16_f32 v18, v12, v13                            // 0000000072F8: D2680012 00021B0C
	v_cvt_pk_bf16_f32 v19, v14, v15                            // 000000007300: D2680013 00021F0E
	s_nop 1                                                    // 000000007308: BF800001
	v_permlane16_swap_b32_e32 v16, v18                         // 00000000730C: 7E20B312
	s_nop 1                                                    // 000000007310: BF800001
	v_permlane16_swap_b32_e32 v17, v19                         // 000000007314: 7E22B313
	s_nop 1                                                    // 000000007318: BF800001
	buffer_store_dwordx4 v[16:19], v234, s[4:7], 0 offen       // 00000000731C: E07C1000 800110EA
	v_add_u32_e32 v234, s62, v234                              // 000000007324: 69D5D43E
	v_accvgpr_read_b32 v8, a96                                 // 000000007328: D3D84008 18000160
	v_accvgpr_read_b32 v9, a97                                 // 000000007330: D3D84009 18000161
	v_accvgpr_read_b32 v10, a98                                // 000000007338: D3D8400A 18000162
	v_accvgpr_read_b32 v11, a99                                // 000000007340: D3D8400B 18000163
	v_accvgpr_read_b32 v12, a104                               // 000000007348: D3D8400C 18000168
	v_accvgpr_read_b32 v13, a105                               // 000000007350: D3D8400D 18000169
	v_accvgpr_read_b32 v14, a106                               // 000000007358: D3D8400E 1800016A
	v_accvgpr_read_b32 v15, a107                               // 000000007360: D3D8400F 1800016B
	v_cvt_pk_bf16_f32 v16, v8, v9                              // 000000007368: D2680010 00021308
	v_cvt_pk_bf16_f32 v17, v10, v11                            // 000000007370: D2680011 0002170A
	v_cvt_pk_bf16_f32 v18, v12, v13                            // 000000007378: D2680012 00021B0C
	v_cvt_pk_bf16_f32 v19, v14, v15                            // 000000007380: D2680013 00021F0E
	s_nop 1                                                    // 000000007388: BF800001
	v_permlane16_swap_b32_e32 v16, v18                         // 00000000738C: 7E20B312
	s_nop 1                                                    // 000000007390: BF800001
	v_permlane16_swap_b32_e32 v17, v19                         // 000000007394: 7E22B313
	s_nop 1                                                    // 000000007398: BF800001
	buffer_store_dwordx4 v[16:19], v234, s[4:7], 0 offen       // 00000000739C: E07C1000 800110EA
	v_add_u32_e32 v234, s62, v234                              // 0000000073A4: 69D5D43E
	v_accvgpr_read_b32 v8, a100                                // 0000000073A8: D3D84008 18000164
	v_accvgpr_read_b32 v9, a101                                // 0000000073B0: D3D84009 18000165
	v_accvgpr_read_b32 v10, a102                               // 0000000073B8: D3D8400A 18000166
	v_accvgpr_read_b32 v11, a103                               // 0000000073C0: D3D8400B 18000167
	v_accvgpr_read_b32 v12, a108                               // 0000000073C8: D3D8400C 1800016C
	v_accvgpr_read_b32 v13, a109                               // 0000000073D0: D3D8400D 1800016D
	v_accvgpr_read_b32 v14, a110                               // 0000000073D8: D3D8400E 1800016E
	v_accvgpr_read_b32 v15, a111                               // 0000000073E0: D3D8400F 1800016F
	v_cvt_pk_bf16_f32 v16, v8, v9                              // 0000000073E8: D2680010 00021308
	v_cvt_pk_bf16_f32 v17, v10, v11                            // 0000000073F0: D2680011 0002170A
	v_cvt_pk_bf16_f32 v18, v12, v13                            // 0000000073F8: D2680012 00021B0C
	v_cvt_pk_bf16_f32 v19, v14, v15                            // 000000007400: D2680013 00021F0E
	s_nop 1                                                    // 000000007408: BF800001
	v_permlane16_swap_b32_e32 v16, v18                         // 00000000740C: 7E20B312
	s_nop 1                                                    // 000000007410: BF800001
	v_permlane16_swap_b32_e32 v17, v19                         // 000000007414: 7E22B313
	s_nop 1                                                    // 000000007418: BF800001
	buffer_store_dwordx4 v[16:19], v234, s[4:7], 0 offen       // 00000000741C: E07C1000 800110EA
	v_add_u32_e32 v234, s62, v234                              // 000000007424: 69D5D43E
	v_accvgpr_read_b32 v8, a112                                // 000000007428: D3D84008 18000170
	v_accvgpr_read_b32 v9, a113                                // 000000007430: D3D84009 18000171
	v_accvgpr_read_b32 v10, a114                               // 000000007438: D3D8400A 18000172
	v_accvgpr_read_b32 v11, a115                               // 000000007440: D3D8400B 18000173
	v_accvgpr_read_b32 v12, a120                               // 000000007448: D3D8400C 18000178
	v_accvgpr_read_b32 v13, a121                               // 000000007450: D3D8400D 18000179
	v_accvgpr_read_b32 v14, a122                               // 000000007458: D3D8400E 1800017A
	v_accvgpr_read_b32 v15, a123                               // 000000007460: D3D8400F 1800017B
	v_cvt_pk_bf16_f32 v16, v8, v9                              // 000000007468: D2680010 00021308
	v_cvt_pk_bf16_f32 v17, v10, v11                            // 000000007470: D2680011 0002170A
	v_cvt_pk_bf16_f32 v18, v12, v13                            // 000000007478: D2680012 00021B0C
	v_cvt_pk_bf16_f32 v19, v14, v15                            // 000000007480: D2680013 00021F0E
	s_nop 1                                                    // 000000007488: BF800001
	v_permlane16_swap_b32_e32 v16, v18                         // 00000000748C: 7E20B312
	s_nop 1                                                    // 000000007490: BF800001
	v_permlane16_swap_b32_e32 v17, v19                         // 000000007494: 7E22B313
	s_nop 1                                                    // 000000007498: BF800001
	buffer_store_dwordx4 v[16:19], v234, s[4:7], 0 offen       // 00000000749C: E07C1000 800110EA
	v_add_u32_e32 v234, s62, v234                              // 0000000074A4: 69D5D43E
	v_accvgpr_read_b32 v8, a116                                // 0000000074A8: D3D84008 18000174
	v_accvgpr_read_b32 v9, a117                                // 0000000074B0: D3D84009 18000175
	v_accvgpr_read_b32 v10, a118                               // 0000000074B8: D3D8400A 18000176
	v_accvgpr_read_b32 v11, a119                               // 0000000074C0: D3D8400B 18000177
	v_accvgpr_read_b32 v12, a124                               // 0000000074C8: D3D8400C 1800017C
	v_accvgpr_read_b32 v13, a125                               // 0000000074D0: D3D8400D 1800017D
	v_accvgpr_read_b32 v14, a126                               // 0000000074D8: D3D8400E 1800017E
	v_accvgpr_read_b32 v15, a127                               // 0000000074E0: D3D8400F 1800017F
	v_cvt_pk_bf16_f32 v16, v8, v9                              // 0000000074E8: D2680010 00021308
	v_cvt_pk_bf16_f32 v17, v10, v11                            // 0000000074F0: D2680011 0002170A
	v_cvt_pk_bf16_f32 v18, v12, v13                            // 0000000074F8: D2680012 00021B0C
	v_cvt_pk_bf16_f32 v19, v14, v15                            // 000000007500: D2680013 00021F0E
	s_nop 1                                                    // 000000007508: BF800001
	v_permlane16_swap_b32_e32 v16, v18                         // 00000000750C: 7E20B312
	s_nop 1                                                    // 000000007510: BF800001
	v_permlane16_swap_b32_e32 v17, v19                         // 000000007514: 7E22B313
	s_nop 1                                                    // 000000007518: BF800001
	buffer_store_dwordx4 v[16:19], v234, s[4:7], 0 offen       // 00000000751C: E07C1000 800110EA
	v_add_u32_e32 v234, s62, v234                              // 000000007524: 69D5D43E
	s_branch label_1450                                        // 000000007528: BF820205

000000000000752c <label_124B>:
	s_mul_i32 s62, s36, 16                                     // 00000000752C: 923E9024
	s_cmp_lt_i32 s60, s44                                      // 000000007530: BF042C3C
	s_cbranch_scc0 label_1450                                  // 000000007534: BF840202
	s_addk_i32 s60, 0x20                                       // 000000007538: B73C0020
	v_add_u32_e32 v234, 0, v230                                // 00000000753C: 69D5CC80
	v_accvgpr_read_b32 v8, a0                                  // 000000007540: D3D84008 18000100
	v_accvgpr_read_b32 v9, a1                                  // 000000007548: D3D84009 18000101
	v_accvgpr_read_b32 v10, a2                                 // 000000007550: D3D8400A 18000102
	v_accvgpr_read_b32 v11, a3                                 // 000000007558: D3D8400B 18000103
	v_accvgpr_read_b32 v12, a8                                 // 000000007560: D3D8400C 18000108
	v_accvgpr_read_b32 v13, a9                                 // 000000007568: D3D8400D 18000109
	v_accvgpr_read_b32 v14, a10                                // 000000007570: D3D8400E 1800010A
	v_accvgpr_read_b32 v15, a11                                // 000000007578: D3D8400F 1800010B
	v_cvt_pk_bf16_f32 v16, v8, v9                              // 000000007580: D2680010 00021308
	v_cvt_pk_bf16_f32 v17, v10, v11                            // 000000007588: D2680011 0002170A
	v_cvt_pk_bf16_f32 v18, v12, v13                            // 000000007590: D2680012 00021B0C
	v_cvt_pk_bf16_f32 v19, v14, v15                            // 000000007598: D2680013 00021F0E
	s_nop 1                                                    // 0000000075A0: BF800001
	v_permlane16_swap_b32_e32 v16, v18                         // 0000000075A4: 7E20B312
	s_nop 1                                                    // 0000000075A8: BF800001
	v_permlane16_swap_b32_e32 v17, v19                         // 0000000075AC: 7E22B313
	s_nop 1                                                    // 0000000075B0: BF800001
	buffer_store_dwordx4 v[16:19], v234, s[4:7], 0 offen       // 0000000075B4: E07C1000 800110EA
	v_add_u32_e32 v234, s62, v234                              // 0000000075BC: 69D5D43E
	v_accvgpr_read_b32 v8, a4                                  // 0000000075C0: D3D84008 18000104
	v_accvgpr_read_b32 v9, a5                                  // 0000000075C8: D3D84009 18000105
	v_accvgpr_read_b32 v10, a6                                 // 0000000075D0: D3D8400A 18000106
	v_accvgpr_read_b32 v11, a7                                 // 0000000075D8: D3D8400B 18000107
	v_accvgpr_read_b32 v12, a12                                // 0000000075E0: D3D8400C 1800010C
	v_accvgpr_read_b32 v13, a13                                // 0000000075E8: D3D8400D 1800010D
	v_accvgpr_read_b32 v14, a14                                // 0000000075F0: D3D8400E 1800010E
	v_accvgpr_read_b32 v15, a15                                // 0000000075F8: D3D8400F 1800010F
	v_cvt_pk_bf16_f32 v16, v8, v9                              // 000000007600: D2680010 00021308
	v_cvt_pk_bf16_f32 v17, v10, v11                            // 000000007608: D2680011 0002170A
	v_cvt_pk_bf16_f32 v18, v12, v13                            // 000000007610: D2680012 00021B0C
	v_cvt_pk_bf16_f32 v19, v14, v15                            // 000000007618: D2680013 00021F0E
	s_nop 1                                                    // 000000007620: BF800001
	v_permlane16_swap_b32_e32 v16, v18                         // 000000007624: 7E20B312
	s_nop 1                                                    // 000000007628: BF800001
	v_permlane16_swap_b32_e32 v17, v19                         // 00000000762C: 7E22B313
	s_nop 1                                                    // 000000007630: BF800001
	buffer_store_dwordx4 v[16:19], v234, s[4:7], 0 offen       // 000000007634: E07C1000 800110EA
	v_add_u32_e32 v234, s62, v234                              // 00000000763C: 69D5D43E
	v_accvgpr_read_b32 v8, a16                                 // 000000007640: D3D84008 18000110
	v_accvgpr_read_b32 v9, a17                                 // 000000007648: D3D84009 18000111
	v_accvgpr_read_b32 v10, a18                                // 000000007650: D3D8400A 18000112
	v_accvgpr_read_b32 v11, a19                                // 000000007658: D3D8400B 18000113
	v_accvgpr_read_b32 v12, a24                                // 000000007660: D3D8400C 18000118
	v_accvgpr_read_b32 v13, a25                                // 000000007668: D3D8400D 18000119
	v_accvgpr_read_b32 v14, a26                                // 000000007670: D3D8400E 1800011A
	v_accvgpr_read_b32 v15, a27                                // 000000007678: D3D8400F 1800011B
	v_cvt_pk_bf16_f32 v16, v8, v9                              // 000000007680: D2680010 00021308
	v_cvt_pk_bf16_f32 v17, v10, v11                            // 000000007688: D2680011 0002170A
	v_cvt_pk_bf16_f32 v18, v12, v13                            // 000000007690: D2680012 00021B0C
	v_cvt_pk_bf16_f32 v19, v14, v15                            // 000000007698: D2680013 00021F0E
	s_nop 1                                                    // 0000000076A0: BF800001
	v_permlane16_swap_b32_e32 v16, v18                         // 0000000076A4: 7E20B312
	s_nop 1                                                    // 0000000076A8: BF800001
	v_permlane16_swap_b32_e32 v17, v19                         // 0000000076AC: 7E22B313
	s_nop 1                                                    // 0000000076B0: BF800001
	buffer_store_dwordx4 v[16:19], v234, s[4:7], 0 offen       // 0000000076B4: E07C1000 800110EA
	v_add_u32_e32 v234, s62, v234                              // 0000000076BC: 69D5D43E
	v_accvgpr_read_b32 v8, a20                                 // 0000000076C0: D3D84008 18000114
	v_accvgpr_read_b32 v9, a21                                 // 0000000076C8: D3D84009 18000115
	v_accvgpr_read_b32 v10, a22                                // 0000000076D0: D3D8400A 18000116
	v_accvgpr_read_b32 v11, a23                                // 0000000076D8: D3D8400B 18000117
	v_accvgpr_read_b32 v12, a28                                // 0000000076E0: D3D8400C 1800011C
	v_accvgpr_read_b32 v13, a29                                // 0000000076E8: D3D8400D 1800011D
	v_accvgpr_read_b32 v14, a30                                // 0000000076F0: D3D8400E 1800011E
	v_accvgpr_read_b32 v15, a31                                // 0000000076F8: D3D8400F 1800011F
	v_cvt_pk_bf16_f32 v16, v8, v9                              // 000000007700: D2680010 00021308
	v_cvt_pk_bf16_f32 v17, v10, v11                            // 000000007708: D2680011 0002170A
	v_cvt_pk_bf16_f32 v18, v12, v13                            // 000000007710: D2680012 00021B0C
	v_cvt_pk_bf16_f32 v19, v14, v15                            // 000000007718: D2680013 00021F0E
	s_nop 1                                                    // 000000007720: BF800001
	v_permlane16_swap_b32_e32 v16, v18                         // 000000007724: 7E20B312
	s_nop 1                                                    // 000000007728: BF800001
	v_permlane16_swap_b32_e32 v17, v19                         // 00000000772C: 7E22B313
	s_nop 1                                                    // 000000007730: BF800001
	buffer_store_dwordx4 v[16:19], v234, s[4:7], 0 offen       // 000000007734: E07C1000 800110EA
	v_add_u32_e32 v234, s62, v234                              // 00000000773C: 69D5D43E
	v_accvgpr_read_b32 v8, a32                                 // 000000007740: D3D84008 18000120
	v_accvgpr_read_b32 v9, a33                                 // 000000007748: D3D84009 18000121
	v_accvgpr_read_b32 v10, a34                                // 000000007750: D3D8400A 18000122
	v_accvgpr_read_b32 v11, a35                                // 000000007758: D3D8400B 18000123
	v_accvgpr_read_b32 v12, a40                                // 000000007760: D3D8400C 18000128
	v_accvgpr_read_b32 v13, a41                                // 000000007768: D3D8400D 18000129
	v_accvgpr_read_b32 v14, a42                                // 000000007770: D3D8400E 1800012A
	v_accvgpr_read_b32 v15, a43                                // 000000007778: D3D8400F 1800012B
	v_cvt_pk_bf16_f32 v16, v8, v9                              // 000000007780: D2680010 00021308
	v_cvt_pk_bf16_f32 v17, v10, v11                            // 000000007788: D2680011 0002170A
	v_cvt_pk_bf16_f32 v18, v12, v13                            // 000000007790: D2680012 00021B0C
	v_cvt_pk_bf16_f32 v19, v14, v15                            // 000000007798: D2680013 00021F0E
	s_nop 1                                                    // 0000000077A0: BF800001
	v_permlane16_swap_b32_e32 v16, v18                         // 0000000077A4: 7E20B312
	s_nop 1                                                    // 0000000077A8: BF800001
	v_permlane16_swap_b32_e32 v17, v19                         // 0000000077AC: 7E22B313
	s_nop 1                                                    // 0000000077B0: BF800001
	buffer_store_dwordx4 v[16:19], v234, s[4:7], 0 offen       // 0000000077B4: E07C1000 800110EA
	v_add_u32_e32 v234, s62, v234                              // 0000000077BC: 69D5D43E
	v_accvgpr_read_b32 v8, a36                                 // 0000000077C0: D3D84008 18000124
	v_accvgpr_read_b32 v9, a37                                 // 0000000077C8: D3D84009 18000125
	v_accvgpr_read_b32 v10, a38                                // 0000000077D0: D3D8400A 18000126
	v_accvgpr_read_b32 v11, a39                                // 0000000077D8: D3D8400B 18000127
	v_accvgpr_read_b32 v12, a44                                // 0000000077E0: D3D8400C 1800012C
	v_accvgpr_read_b32 v13, a45                                // 0000000077E8: D3D8400D 1800012D
	v_accvgpr_read_b32 v14, a46                                // 0000000077F0: D3D8400E 1800012E
	v_accvgpr_read_b32 v15, a47                                // 0000000077F8: D3D8400F 1800012F
	v_cvt_pk_bf16_f32 v16, v8, v9                              // 000000007800: D2680010 00021308
	v_cvt_pk_bf16_f32 v17, v10, v11                            // 000000007808: D2680011 0002170A
	v_cvt_pk_bf16_f32 v18, v12, v13                            // 000000007810: D2680012 00021B0C
	v_cvt_pk_bf16_f32 v19, v14, v15                            // 000000007818: D2680013 00021F0E
	s_nop 1                                                    // 000000007820: BF800001
	v_permlane16_swap_b32_e32 v16, v18                         // 000000007824: 7E20B312
	s_nop 1                                                    // 000000007828: BF800001
	v_permlane16_swap_b32_e32 v17, v19                         // 00000000782C: 7E22B313
	s_nop 1                                                    // 000000007830: BF800001
	buffer_store_dwordx4 v[16:19], v234, s[4:7], 0 offen       // 000000007834: E07C1000 800110EA
	v_add_u32_e32 v234, s62, v234                              // 00000000783C: 69D5D43E
	v_accvgpr_read_b32 v8, a48                                 // 000000007840: D3D84008 18000130
	v_accvgpr_read_b32 v9, a49                                 // 000000007848: D3D84009 18000131
	v_accvgpr_read_b32 v10, a50                                // 000000007850: D3D8400A 18000132
	v_accvgpr_read_b32 v11, a51                                // 000000007858: D3D8400B 18000133
	v_accvgpr_read_b32 v12, a56                                // 000000007860: D3D8400C 18000138
	v_accvgpr_read_b32 v13, a57                                // 000000007868: D3D8400D 18000139
	v_accvgpr_read_b32 v14, a58                                // 000000007870: D3D8400E 1800013A
	v_accvgpr_read_b32 v15, a59                                // 000000007878: D3D8400F 1800013B
	v_cvt_pk_bf16_f32 v16, v8, v9                              // 000000007880: D2680010 00021308
	v_cvt_pk_bf16_f32 v17, v10, v11                            // 000000007888: D2680011 0002170A
	v_cvt_pk_bf16_f32 v18, v12, v13                            // 000000007890: D2680012 00021B0C
	v_cvt_pk_bf16_f32 v19, v14, v15                            // 000000007898: D2680013 00021F0E
	s_nop 1                                                    // 0000000078A0: BF800001
	v_permlane16_swap_b32_e32 v16, v18                         // 0000000078A4: 7E20B312
	s_nop 1                                                    // 0000000078A8: BF800001
	v_permlane16_swap_b32_e32 v17, v19                         // 0000000078AC: 7E22B313
	s_nop 1                                                    // 0000000078B0: BF800001
	buffer_store_dwordx4 v[16:19], v234, s[4:7], 0 offen       // 0000000078B4: E07C1000 800110EA
	v_add_u32_e32 v234, s62, v234                              // 0000000078BC: 69D5D43E
	v_accvgpr_read_b32 v8, a52                                 // 0000000078C0: D3D84008 18000134
	v_accvgpr_read_b32 v9, a53                                 // 0000000078C8: D3D84009 18000135
	v_accvgpr_read_b32 v10, a54                                // 0000000078D0: D3D8400A 18000136
	v_accvgpr_read_b32 v11, a55                                // 0000000078D8: D3D8400B 18000137
	v_accvgpr_read_b32 v12, a60                                // 0000000078E0: D3D8400C 1800013C
	v_accvgpr_read_b32 v13, a61                                // 0000000078E8: D3D8400D 1800013D
	v_accvgpr_read_b32 v14, a62                                // 0000000078F0: D3D8400E 1800013E
	v_accvgpr_read_b32 v15, a63                                // 0000000078F8: D3D8400F 1800013F
	v_cvt_pk_bf16_f32 v16, v8, v9                              // 000000007900: D2680010 00021308
	v_cvt_pk_bf16_f32 v17, v10, v11                            // 000000007908: D2680011 0002170A
	v_cvt_pk_bf16_f32 v18, v12, v13                            // 000000007910: D2680012 00021B0C
	v_cvt_pk_bf16_f32 v19, v14, v15                            // 000000007918: D2680013 00021F0E
	s_nop 1                                                    // 000000007920: BF800001
	v_permlane16_swap_b32_e32 v16, v18                         // 000000007924: 7E20B312
	s_nop 1                                                    // 000000007928: BF800001
	v_permlane16_swap_b32_e32 v17, v19                         // 00000000792C: 7E22B313
	s_nop 1                                                    // 000000007930: BF800001
	buffer_store_dwordx4 v[16:19], v234, s[4:7], 0 offen       // 000000007934: E07C1000 800110EA
	v_add_u32_e32 v234, s62, v234                              // 00000000793C: 69D5D43E
	v_accvgpr_read_b32 v8, a64                                 // 000000007940: D3D84008 18000140
	v_accvgpr_read_b32 v9, a65                                 // 000000007948: D3D84009 18000141
	v_accvgpr_read_b32 v10, a66                                // 000000007950: D3D8400A 18000142
	v_accvgpr_read_b32 v11, a67                                // 000000007958: D3D8400B 18000143
	v_accvgpr_read_b32 v12, a72                                // 000000007960: D3D8400C 18000148
	v_accvgpr_read_b32 v13, a73                                // 000000007968: D3D8400D 18000149
	v_accvgpr_read_b32 v14, a74                                // 000000007970: D3D8400E 1800014A
	v_accvgpr_read_b32 v15, a75                                // 000000007978: D3D8400F 1800014B
	v_cvt_pk_bf16_f32 v16, v8, v9                              // 000000007980: D2680010 00021308
	v_cvt_pk_bf16_f32 v17, v10, v11                            // 000000007988: D2680011 0002170A
	v_cvt_pk_bf16_f32 v18, v12, v13                            // 000000007990: D2680012 00021B0C
	v_cvt_pk_bf16_f32 v19, v14, v15                            // 000000007998: D2680013 00021F0E
	s_nop 1                                                    // 0000000079A0: BF800001
	v_permlane16_swap_b32_e32 v16, v18                         // 0000000079A4: 7E20B312
	s_nop 1                                                    // 0000000079A8: BF800001
	v_permlane16_swap_b32_e32 v17, v19                         // 0000000079AC: 7E22B313
	s_nop 1                                                    // 0000000079B0: BF800001
	buffer_store_dwordx4 v[16:19], v234, s[4:7], 0 offen       // 0000000079B4: E07C1000 800110EA
	v_add_u32_e32 v234, s62, v234                              // 0000000079BC: 69D5D43E
	v_accvgpr_read_b32 v8, a68                                 // 0000000079C0: D3D84008 18000144
	v_accvgpr_read_b32 v9, a69                                 // 0000000079C8: D3D84009 18000145
	v_accvgpr_read_b32 v10, a70                                // 0000000079D0: D3D8400A 18000146
	v_accvgpr_read_b32 v11, a71                                // 0000000079D8: D3D8400B 18000147
	v_accvgpr_read_b32 v12, a76                                // 0000000079E0: D3D8400C 1800014C
	v_accvgpr_read_b32 v13, a77                                // 0000000079E8: D3D8400D 1800014D
	v_accvgpr_read_b32 v14, a78                                // 0000000079F0: D3D8400E 1800014E
	v_accvgpr_read_b32 v15, a79                                // 0000000079F8: D3D8400F 1800014F
	v_cvt_pk_bf16_f32 v16, v8, v9                              // 000000007A00: D2680010 00021308
	v_cvt_pk_bf16_f32 v17, v10, v11                            // 000000007A08: D2680011 0002170A
	v_cvt_pk_bf16_f32 v18, v12, v13                            // 000000007A10: D2680012 00021B0C
	v_cvt_pk_bf16_f32 v19, v14, v15                            // 000000007A18: D2680013 00021F0E
	s_nop 1                                                    // 000000007A20: BF800001
	v_permlane16_swap_b32_e32 v16, v18                         // 000000007A24: 7E20B312
	s_nop 1                                                    // 000000007A28: BF800001
	v_permlane16_swap_b32_e32 v17, v19                         // 000000007A2C: 7E22B313
	s_nop 1                                                    // 000000007A30: BF800001
	buffer_store_dwordx4 v[16:19], v234, s[4:7], 0 offen       // 000000007A34: E07C1000 800110EA
	v_add_u32_e32 v234, s62, v234                              // 000000007A3C: 69D5D43E
	v_accvgpr_read_b32 v8, a80                                 // 000000007A40: D3D84008 18000150
	v_accvgpr_read_b32 v9, a81                                 // 000000007A48: D3D84009 18000151
	v_accvgpr_read_b32 v10, a82                                // 000000007A50: D3D8400A 18000152
	v_accvgpr_read_b32 v11, a83                                // 000000007A58: D3D8400B 18000153
	v_accvgpr_read_b32 v12, a88                                // 000000007A60: D3D8400C 18000158
	v_accvgpr_read_b32 v13, a89                                // 000000007A68: D3D8400D 18000159
	v_accvgpr_read_b32 v14, a90                                // 000000007A70: D3D8400E 1800015A
	v_accvgpr_read_b32 v15, a91                                // 000000007A78: D3D8400F 1800015B
	v_cvt_pk_bf16_f32 v16, v8, v9                              // 000000007A80: D2680010 00021308
	v_cvt_pk_bf16_f32 v17, v10, v11                            // 000000007A88: D2680011 0002170A
	v_cvt_pk_bf16_f32 v18, v12, v13                            // 000000007A90: D2680012 00021B0C
	v_cvt_pk_bf16_f32 v19, v14, v15                            // 000000007A98: D2680013 00021F0E
	s_nop 1                                                    // 000000007AA0: BF800001
	v_permlane16_swap_b32_e32 v16, v18                         // 000000007AA4: 7E20B312
	s_nop 1                                                    // 000000007AA8: BF800001
	v_permlane16_swap_b32_e32 v17, v19                         // 000000007AAC: 7E22B313
	s_nop 1                                                    // 000000007AB0: BF800001
	buffer_store_dwordx4 v[16:19], v234, s[4:7], 0 offen       // 000000007AB4: E07C1000 800110EA
	v_add_u32_e32 v234, s62, v234                              // 000000007ABC: 69D5D43E
	v_accvgpr_read_b32 v8, a84                                 // 000000007AC0: D3D84008 18000154
	v_accvgpr_read_b32 v9, a85                                 // 000000007AC8: D3D84009 18000155
	v_accvgpr_read_b32 v10, a86                                // 000000007AD0: D3D8400A 18000156
	v_accvgpr_read_b32 v11, a87                                // 000000007AD8: D3D8400B 18000157
	v_accvgpr_read_b32 v12, a92                                // 000000007AE0: D3D8400C 1800015C
	v_accvgpr_read_b32 v13, a93                                // 000000007AE8: D3D8400D 1800015D
	v_accvgpr_read_b32 v14, a94                                // 000000007AF0: D3D8400E 1800015E
	v_accvgpr_read_b32 v15, a95                                // 000000007AF8: D3D8400F 1800015F
	v_cvt_pk_bf16_f32 v16, v8, v9                              // 000000007B00: D2680010 00021308
	v_cvt_pk_bf16_f32 v17, v10, v11                            // 000000007B08: D2680011 0002170A
	v_cvt_pk_bf16_f32 v18, v12, v13                            // 000000007B10: D2680012 00021B0C
	v_cvt_pk_bf16_f32 v19, v14, v15                            // 000000007B18: D2680013 00021F0E
	s_nop 1                                                    // 000000007B20: BF800001
	v_permlane16_swap_b32_e32 v16, v18                         // 000000007B24: 7E20B312
	s_nop 1                                                    // 000000007B28: BF800001
	v_permlane16_swap_b32_e32 v17, v19                         // 000000007B2C: 7E22B313
	s_nop 1                                                    // 000000007B30: BF800001
	buffer_store_dwordx4 v[16:19], v234, s[4:7], 0 offen       // 000000007B34: E07C1000 800110EA
	v_add_u32_e32 v234, s62, v234                              // 000000007B3C: 69D5D43E
	v_accvgpr_read_b32 v8, a96                                 // 000000007B40: D3D84008 18000160
	v_accvgpr_read_b32 v9, a97                                 // 000000007B48: D3D84009 18000161
	v_accvgpr_read_b32 v10, a98                                // 000000007B50: D3D8400A 18000162
	v_accvgpr_read_b32 v11, a99                                // 000000007B58: D3D8400B 18000163
	v_accvgpr_read_b32 v12, a104                               // 000000007B60: D3D8400C 18000168
	v_accvgpr_read_b32 v13, a105                               // 000000007B68: D3D8400D 18000169
	v_accvgpr_read_b32 v14, a106                               // 000000007B70: D3D8400E 1800016A
	v_accvgpr_read_b32 v15, a107                               // 000000007B78: D3D8400F 1800016B
	v_cvt_pk_bf16_f32 v16, v8, v9                              // 000000007B80: D2680010 00021308
	v_cvt_pk_bf16_f32 v17, v10, v11                            // 000000007B88: D2680011 0002170A
	v_cvt_pk_bf16_f32 v18, v12, v13                            // 000000007B90: D2680012 00021B0C
	v_cvt_pk_bf16_f32 v19, v14, v15                            // 000000007B98: D2680013 00021F0E
	s_nop 1                                                    // 000000007BA0: BF800001
	v_permlane16_swap_b32_e32 v16, v18                         // 000000007BA4: 7E20B312
	s_nop 1                                                    // 000000007BA8: BF800001
	v_permlane16_swap_b32_e32 v17, v19                         // 000000007BAC: 7E22B313
	s_nop 1                                                    // 000000007BB0: BF800001
	buffer_store_dwordx4 v[16:19], v234, s[4:7], 0 offen       // 000000007BB4: E07C1000 800110EA
	v_add_u32_e32 v234, s62, v234                              // 000000007BBC: 69D5D43E
	v_accvgpr_read_b32 v8, a100                                // 000000007BC0: D3D84008 18000164
	v_accvgpr_read_b32 v9, a101                                // 000000007BC8: D3D84009 18000165
	v_accvgpr_read_b32 v10, a102                               // 000000007BD0: D3D8400A 18000166
	v_accvgpr_read_b32 v11, a103                               // 000000007BD8: D3D8400B 18000167
	v_accvgpr_read_b32 v12, a108                               // 000000007BE0: D3D8400C 1800016C
	v_accvgpr_read_b32 v13, a109                               // 000000007BE8: D3D8400D 1800016D
	v_accvgpr_read_b32 v14, a110                               // 000000007BF0: D3D8400E 1800016E
	v_accvgpr_read_b32 v15, a111                               // 000000007BF8: D3D8400F 1800016F
	v_cvt_pk_bf16_f32 v16, v8, v9                              // 000000007C00: D2680010 00021308
	v_cvt_pk_bf16_f32 v17, v10, v11                            // 000000007C08: D2680011 0002170A
	v_cvt_pk_bf16_f32 v18, v12, v13                            // 000000007C10: D2680012 00021B0C
	v_cvt_pk_bf16_f32 v19, v14, v15                            // 000000007C18: D2680013 00021F0E
	s_nop 1                                                    // 000000007C20: BF800001
	v_permlane16_swap_b32_e32 v16, v18                         // 000000007C24: 7E20B312
	s_nop 1                                                    // 000000007C28: BF800001
	v_permlane16_swap_b32_e32 v17, v19                         // 000000007C2C: 7E22B313
	s_nop 1                                                    // 000000007C30: BF800001
	buffer_store_dwordx4 v[16:19], v234, s[4:7], 0 offen       // 000000007C34: E07C1000 800110EA
	v_add_u32_e32 v234, s62, v234                              // 000000007C3C: 69D5D43E
	v_accvgpr_read_b32 v8, a112                                // 000000007C40: D3D84008 18000170
	v_accvgpr_read_b32 v9, a113                                // 000000007C48: D3D84009 18000171
	v_accvgpr_read_b32 v10, a114                               // 000000007C50: D3D8400A 18000172
	v_accvgpr_read_b32 v11, a115                               // 000000007C58: D3D8400B 18000173
	v_accvgpr_read_b32 v12, a120                               // 000000007C60: D3D8400C 18000178
	v_accvgpr_read_b32 v13, a121                               // 000000007C68: D3D8400D 18000179
	v_accvgpr_read_b32 v14, a122                               // 000000007C70: D3D8400E 1800017A
	v_accvgpr_read_b32 v15, a123                               // 000000007C78: D3D8400F 1800017B
	v_cvt_pk_bf16_f32 v16, v8, v9                              // 000000007C80: D2680010 00021308
	v_cvt_pk_bf16_f32 v17, v10, v11                            // 000000007C88: D2680011 0002170A
	v_cvt_pk_bf16_f32 v18, v12, v13                            // 000000007C90: D2680012 00021B0C
	v_cvt_pk_bf16_f32 v19, v14, v15                            // 000000007C98: D2680013 00021F0E
	s_nop 1                                                    // 000000007CA0: BF800001
	v_permlane16_swap_b32_e32 v16, v18                         // 000000007CA4: 7E20B312
	s_nop 1                                                    // 000000007CA8: BF800001
	v_permlane16_swap_b32_e32 v17, v19                         // 000000007CAC: 7E22B313
	s_nop 1                                                    // 000000007CB0: BF800001
	buffer_store_dwordx4 v[16:19], v234, s[4:7], 0 offen       // 000000007CB4: E07C1000 800110EA
	v_add_u32_e32 v234, s62, v234                              // 000000007CBC: 69D5D43E
	v_accvgpr_read_b32 v8, a116                                // 000000007CC0: D3D84008 18000174
	v_accvgpr_read_b32 v9, a117                                // 000000007CC8: D3D84009 18000175
	v_accvgpr_read_b32 v10, a118                               // 000000007CD0: D3D8400A 18000176
	v_accvgpr_read_b32 v11, a119                               // 000000007CD8: D3D8400B 18000177
	v_accvgpr_read_b32 v12, a124                               // 000000007CE0: D3D8400C 1800017C
	v_accvgpr_read_b32 v13, a125                               // 000000007CE8: D3D8400D 1800017D
	v_accvgpr_read_b32 v14, a126                               // 000000007CF0: D3D8400E 1800017E
	v_accvgpr_read_b32 v15, a127                               // 000000007CF8: D3D8400F 1800017F
	v_cvt_pk_bf16_f32 v16, v8, v9                              // 000000007D00: D2680010 00021308
	v_cvt_pk_bf16_f32 v17, v10, v11                            // 000000007D08: D2680011 0002170A
	v_cvt_pk_bf16_f32 v18, v12, v13                            // 000000007D10: D2680012 00021B0C
	v_cvt_pk_bf16_f32 v19, v14, v15                            // 000000007D18: D2680013 00021F0E
	s_nop 1                                                    // 000000007D20: BF800001
	v_permlane16_swap_b32_e32 v16, v18                         // 000000007D24: 7E20B312
	s_nop 1                                                    // 000000007D28: BF800001
	v_permlane16_swap_b32_e32 v17, v19                         // 000000007D2C: 7E22B313
	s_nop 1                                                    // 000000007D30: BF800001
	buffer_store_dwordx4 v[16:19], v234, s[4:7], 0 offen       // 000000007D34: E07C1000 800110EA
	v_add_u32_e32 v234, s62, v234                              // 000000007D3C: 69D5D43E

0000000000007d40 <label_1450>:
	s_waitcnt vmcnt(0) expcnt(0) lgkmcnt(0)                    // 000000007D40: BF8C0000
	s_endpgm                                                   // 000000007D44: BF810000
